;; amdgpu-corpus repo=ROCm/aiter kind=harvested arch=n/a opt=n/a

/root/src/amdgpu-assembly/repos/ROCm__aiter/hsa/gfx942/fmha_v3_bwd/bwd_hd128_bf16_causal_a16_rtne_pddv.co:	file format elf64-amdgpu

Disassembly of section .text:

0000000000003e00 <_ZN5aiter40fmha_bwd_hd128_bf16_causal_a16_rtne_pddvE>:
	s_and_b32 s1, s1, 0xffff                                   // 000000003E00: 8601FF01 0000FFFF
	s_load_dwordx2 s[32:33], s[0:1], 0x0                       // 000000003E08: C0060800 00000000
	s_load_dwordx2 s[36:37], s[0:1], 0x10                      // 000000003E10: C0060900 00000010
	s_load_dwordx2 s[40:41], s[0:1], 0x20                      // 000000003E18: C0060A00 00000020
	s_load_dwordx2 s[8:9], s[0:1], 0x30                        // 000000003E20: C0060200 00000030
	s_load_dwordx2 s[12:13], s[0:1], 0x40                      // 000000003E28: C0060300 00000040
	s_load_dwordx2 s[16:17], s[0:1], 0x50                      // 000000003E30: C0060400 00000050
	s_load_dwordx2 s[20:21], s[0:1], 0x60                      // 000000003E38: C0060500 00000060
	s_load_dwordx2 s[24:25], s[0:1], 0x70                      // 000000003E40: C0060600 00000070
	s_load_dwordx2 s[28:29], s[0:1], 0x80                      // 000000003E48: C0060700 00000080
	s_load_dword s48, s[0:1], 0x90                             // 000000003E50: C0020C00 00000090
	s_load_dword s49, s[0:1], 0xa0                             // 000000003E58: C0020C40 000000A0
	s_load_dword s50, s[0:1], 0xb0                             // 000000003E60: C0020C80 000000B0
	s_load_dword s51, s[0:1], 0xc0                             // 000000003E68: C0020CC0 000000C0
	s_load_dword s52, s[0:1], 0xd0                             // 000000003E70: C0020D00 000000D0
	s_load_dword s53, s[0:1], 0xe0                             // 000000003E78: C0020D40 000000E0
	s_load_dword s70, s[0:1], 0xf0                             // 000000003E80: C0021180 000000F0
	s_load_dword s44, s[0:1], 0x100                            // 000000003E88: C0020B00 00000100
	s_load_dword s5, s[0:1], 0x110                             // 000000003E90: C0020140 00000110
	s_load_dword s6, s[0:1], 0x120                             // 000000003E98: C0020180 00000120
	s_load_dword s7, s[0:1], 0x130                             // 000000003EA0: C00201C0 00000130
	s_load_dword s46, s[0:1], 0x140                            // 000000003EA8: C0020B80 00000140
	s_load_dword s100, s[0:1], 0x160                           // 000000003EB0: C0021900 00000160
	v_lshrrev_b32_e32 v1, 10, v0                               // 000000003EB8: 2002008A
	v_lshrrev_b32_e32 v2, 10, v1                               // 000000003EBC: 2004028A
	v_and_b32_e32 v2, 0x3ff, v2                                // 000000003EC0: 260404FF 000003FF
	v_and_b32_e32 v1, 0x3ff, v1                                // 000000003EC8: 260202FF 000003FF
	v_and_b32_e32 v0, 0x3ff, v0                                // 000000003ED0: 260000FF 000003FF
	v_lshrrev_b32_e32 v3, 6, v0                                // 000000003ED8: 20060086
	v_and_b32_e32 v0, 63, v0                                   // 000000003EDC: 260000BF
	s_mov_b32 s2, s2                                           // 000000003EE0: BE820002
	s_mov_b32 s3, s3                                           // 000000003EE4: BE830003
	s_mov_b32 s4, s4                                           // 000000003EE8: BE840004
	v_readfirstlane_b32 s47, v3                                // 000000003EEC: 7E5E0503
	s_waitcnt lgkmcnt(0)                                       // 000000003EF0: BF8CC07F
	s_mov_b32 s10, 0x80000000                                  // 000000003EF4: BE8A00FF 80000000
	s_mov_b32 s14, 0x80000000                                  // 000000003EFC: BE8E00FF 80000000
	s_mov_b32 s18, 0x80000000                                  // 000000003F04: BE9200FF 80000000
	s_mov_b32 s22, 0x80000000                                  // 000000003F0C: BE9600FF 80000000
	s_mov_b32 s26, 0x80000000                                  // 000000003F14: BE9A00FF 80000000
	s_mov_b32 s30, 0x80000000                                  // 000000003F1C: BE9E00FF 80000000
	s_mov_b32 s38, 0x80000000                                  // 000000003F24: BEA600FF 80000000
	s_mov_b32 s42, 0x80000000                                  // 000000003F2C: BEAA00FF 80000000
	s_mov_b32 s11, 0x20000                                     // 000000003F34: BE8B00FF 00020000
	s_mov_b32 s15, 0x20000                                     // 000000003F3C: BE8F00FF 00020000
	s_mov_b32 s19, 0x20000                                     // 000000003F44: BE9300FF 00020000
	s_mov_b32 s23, 0x20000                                     // 000000003F4C: BE9700FF 00020000
	s_mov_b32 s27, 0x20000                                     // 000000003F54: BE9B00FF 00020000
	s_mov_b32 s31, 0x20000                                     // 000000003F5C: BE9F00FF 00020000
	s_mov_b32 s39, 0x20000                                     // 000000003F64: BEA700FF 00020000
	s_mov_b32 s43, 0x20000                                     // 000000003F6C: BEAB00FF 00020000
	s_and_b32 s9, s9, 0xffff                                   // 000000003F74: 8609FF09 0000FFFF
	s_and_b32 s13, s13, 0xffff                                 // 000000003F7C: 860DFF0D 0000FFFF
	s_and_b32 s17, s17, 0xffff                                 // 000000003F84: 8611FF11 0000FFFF
	s_and_b32 s21, s21, 0xffff                                 // 000000003F8C: 8615FF15 0000FFFF
	s_and_b32 s25, s25, 0xffff                                 // 000000003F94: 8619FF19 0000FFFF
	s_and_b32 s29, s29, 0xffff                                 // 000000003F9C: 861DFF1D 0000FFFF
	s_and_b32 s37, s37, 0xffff                                 // 000000003FA4: 8625FF25 0000FFFF
	s_and_b32 s41, s41, 0xffff                                 // 000000003FAC: 8629FF29 0000FFFF
	s_or_b32 s9, s9, 0x40000                                   // 000000003FB4: 8709FF09 00040000
	s_or_b32 s13, s13, 0x40000                                 // 000000003FBC: 870DFF0D 00040000
	s_or_b32 s17, s17, 0x40000                                 // 000000003FC4: 8711FF11 00040000
	s_or_b32 s21, s21, 0x40000                                 // 000000003FCC: 8715FF15 00040000
	s_or_b32 s25, s25, 0x40000                                 // 000000003FD4: 8719FF19 00040000
	s_or_b32 s29, s29, 0x40000                                 // 000000003FDC: 871DFF1D 00040000
	s_or_b32 s37, s37, 0x40000                                 // 000000003FE4: 8725FF25 00040000
	s_or_b32 s41, s41, 0x40000                                 // 000000003FEC: 8729FF29 00040000
	v_accvgpr_write_b32 a255, 0                                // 000000003FF4: D3D940FF 18000080
	v_mov_b32_e32 v251, 0                                      // 000000003FFC: 7FF60280
	s_mov_b32 s82, s8                                          // 000000004000: BED20008
	s_mov_b32 s84, s12                                         // 000000004004: BED4000C
	s_mov_b32 s86, s16                                         // 000000004008: BED60010
	s_mov_b32 s88, s20                                         // 00000000400C: BED80014
	s_mov_b32 s90, s32                                         // 000000004010: BEDA0020
	s_mov_b32 s83, s9                                          // 000000004014: BED30009
	s_mov_b32 s85, s13                                         // 000000004018: BED5000D
	s_mov_b32 s87, s17                                         // 00000000401C: BED70011
	s_mov_b32 s89, s21                                         // 000000004020: BED90015
	s_mov_b32 s91, s33                                         // 000000004024: BEDB0021
	s_mov_b32 s71, s3                                          // 000000004028: BEC70003
	v_cvt_f32_u32_e32 v28, s44                                 // 00000000402C: 7E380C2C
	s_sub_i32 s60, 0, s44                                      // 000000004030: 81BC2C80
	v_rcp_iflag_f32_e32 v28, v28                               // 000000004034: 7E38471C
	s_nop 0                                                    // 000000004038: BF800000
	v_mul_f32_e32 v28, 0x4f7ffffe, v28                         // 00000000403C: 0A3838FF 4F7FFFFE
	v_cvt_u32_f32_e32 v28, v28                                 // 000000004044: 7E380F1C
	v_mul_lo_u32 v29, s60, v28                                 // 000000004048: D285001D 0002383C
	v_mul_hi_u32 v29, v28, v29                                 // 000000004050: D286001D 00023B1C
	v_add_u32_e32 v28, v28, v29                                // 000000004058: 68383B1C
	v_mul_hi_u32 v28, s71, v28                                 // 00000000405C: D286001C 00023847
	v_mul_lo_u32 v29, v28, s44                                 // 000000004064: D285001D 0000591C
	v_sub_u32_e32 v31, s71, v29                                // 00000000406C: 6A3E3A47
	v_add_u32_e32 v30, 1, v28                                  // 000000004070: 683C3881
	v_cmp_le_u32_e32 vcc, s44, v31                             // 000000004074: 7D963E2C
	v_subrev_u32_e32 v29, s44, v31                             // 000000004078: 6C3A3E2C
	s_nop 0                                                    // 00000000407C: BF800000
	v_cndmask_b32_e32 v28, v28, v30, vcc                       // 000000004080: 00383D1C
	v_cndmask_b32_e32 v31, v31, v29, vcc                       // 000000004084: 003E3B1F
	v_add_u32_e32 v29, 1, v28                                  // 000000004088: 683A3881
	v_cmp_le_u32_e32 vcc, s44, v31                             // 00000000408C: 7D963E2C
	s_nop 1                                                    // 000000004090: BF800001
	v_cndmask_b32_e32 v31, v28, v29, vcc                       // 000000004094: 003E3B1C
	s_nop 3                                                    // 000000004098: BF800003
	v_readfirstlane_b32 s45, v31                               // 00000000409C: 7E5A051F
	s_nop 3                                                    // 0000000040A0: BF800003
	s_add_u32 s71, 0x80, s50                                   // 0000000040A4: 804732FF 00000080
	s_mov_b32 s74, 0xc0                                        // 0000000040AC: BECA00FF 000000C0
	v_cvt_f32_u32_e32 v28, s74                                 // 0000000040B4: 7E380C4A
	s_sub_i32 s60, 0, s74                                      // 0000000040B8: 81BC4A80
	v_rcp_iflag_f32_e32 v28, v28                               // 0000000040BC: 7E38471C
	s_nop 0                                                    // 0000000040C0: BF800000
	v_mul_f32_e32 v28, 0x4f7ffffe, v28                         // 0000000040C4: 0A3838FF 4F7FFFFE
	v_cvt_u32_f32_e32 v28, v28                                 // 0000000040CC: 7E380F1C
	v_mul_lo_u32 v29, s60, v28                                 // 0000000040D0: D285001D 0002383C
	v_mul_hi_u32 v29, v28, v29                                 // 0000000040D8: D286001D 00023B1C
	v_add_u32_e32 v28, v28, v29                                // 0000000040E0: 68383B1C
	v_mul_hi_u32 v28, s71, v28                                 // 0000000040E4: D286001C 00023847
	v_mul_lo_u32 v29, v28, s74                                 // 0000000040EC: D285001D 0000951C
	v_sub_u32_e32 v31, s71, v29                                // 0000000040F4: 6A3E3A47
	v_add_u32_e32 v30, 1, v28                                  // 0000000040F8: 683C3881
	v_cmp_le_u32_e32 vcc, s74, v31                             // 0000000040FC: 7D963E4A
	v_subrev_u32_e32 v29, s74, v31                             // 000000004100: 6C3A3E4A
	s_nop 0                                                    // 000000004104: BF800000
	v_cndmask_b32_e32 v28, v28, v30, vcc                       // 000000004108: 00383D1C
	v_cndmask_b32_e32 v31, v31, v29, vcc                       // 00000000410C: 003E3B1F
	v_add_u32_e32 v29, 1, v28                                  // 000000004110: 683A3881
	v_cmp_le_u32_e32 vcc, s74, v31                             // 000000004114: 7D963E4A
	s_nop 1                                                    // 000000004118: BF800001
	v_cndmask_b32_e32 v31, v28, v29, vcc                       // 00000000411C: 003E3B1C
	s_nop 3                                                    // 000000004120: BF800003
	v_readfirstlane_b32 s77, v31                               // 000000004124: 7E9A051F
	s_nop 3                                                    // 000000004128: BF800003
	v_mov_b32_e32 v28, s48                                     // 00000000412C: 7E380230
	v_mul_f32_e32 v28, s49, v28                                // 000000004130: 0A383831
	s_mov_b32 s66, 0                                           // 000000004134: BEC20080
	s_mov_b32 s58, s50                                         // 000000004138: BEBA0032
	s_mov_b32 s59, 0                                           // 00000000413C: BEBB0080
	s_mov_b32 s63, 0x5040100                                   // 000000004140: BEBF00FF 05040100
	s_mov_b32 s64, 0x7060302                                   // 000000004148: BEC000FF 07060302
	v_readfirstlane_b32 s57, v28                               // 000000004150: 7E72051C
	v_mov_b32_e32 v30, 0x3020706                               // 000000004154: 7E3C02FF 03020706
	v_mov_b32_e32 v28, s63                                     // 00000000415C: 7E38023F
	v_and_b32_e32 v29, 1, v0                                   // 000000004160: 263A0081
	v_cmp_eq_u32_e32 vcc, 1, v29                               // 000000004164: 7D943A81
	s_mul_i32 s67, 16, s70                                     // 000000004168: 92434690
	v_cndmask_b32_e32 v17, v28, v30, vcc                       // 00000000416C: 00223D1C
	v_mov_b32_e32 v249, 0xffff0000                             // 000000004170: 7FF202FF FFFF0000
	v_mov_b32_e32 v250, 0x7fff0000                             // 000000004178: 7FF402FF 7FFF0000
	v_mov_b32_e32 v251, 0x7fff                                 // 000000004180: 7FF602FF 00007FFF
	s_cmp_lt_u32 s47, 2                                        // 000000004188: BF0A822F
	s_cselect_b32 s24, s24, s28                                // 00000000418C: 85181C18
	s_cselect_b32 s25, s25, s29                                // 000000004190: 85191D19
	s_cselect_b32 s26, s26, s30                                // 000000004194: 851A1E1A
	s_cselect_b32 s27, s27, s31                                // 000000004198: 851B1F1B
	s_lshr_b32 s60, s47, 1                                     // 00000000419C: 8F3C812F
	s_lshl_b32 s60, s60, 8                                     // 0000000041A0: 8E3C883C
	s_add_u32 s80, 0xc600, s60                                 // 0000000041A4: 80503CFF 0000C600
	s_add_u32 s81, 0x200, s80                                  // 0000000041AC: 805150FF 00000200
	s_mov_b32 s75, 0                                           // 0000000041B4: BECB0080
	s_mov_b32 s76, 1                                           // 0000000041B8: BECC0081
	s_lshl_b32 s60, s2, 1                                      // 0000000041BC: 8E3C8102
	s_add_u32 s60, 1, s60                                      // 0000000041C0: 803C3C81
	s_mul_i32 s60, 0xc0, s60                                   // 0000000041C4: 923C3CFF 000000C0
	s_cmp_ge_i32 s60, s50                                      // 0000000041CC: BF03323C
	s_cselect_b32 s76, s76, 2                                  // 0000000041D0: 854C824C
	v_lshrrev_b32_e32 v28, 2, v0                               // 0000000041D4: 20380082
	v_and_b32_e32 v29, 3, v28                                  // 0000000041D8: 263A3883
	v_lshrrev_b32_e32 v30, 3, v28                              // 0000000041DC: 203C3883
	v_lshlrev_b32_e32 v30, 2, v30                              // 0000000041E0: 243C3C82
	v_add_u32_e32 v28, v30, v29                                // 0000000041E4: 68383B1E
	s_lshr_b32 s60, s47, 1                                     // 0000000041E8: 8F3C812F
	s_sub_i32 s60, 1, s60                                      // 0000000041EC: 81BC3C81
	v_mul_i32_i24_e64 v29, s60, 8                              // 0000000041F0: D106001D 0001103C
	v_mov_b32_e32 v30, s100                                    // 0000000041F8: 7E3C0264
	v_sub_u32_e64 v30, v30, 64                                 // 0000000041FC: D135001E 0001811E
	v_lshrrev_b32_e32 v30, 3, v30                              // 000000004204: 203C3C83
	v_add_u32_e32 v29, v30, v29                                // 000000004208: 683A3B1E
	v_cmp_lt_u32_e64 s[94:95], v28, v29                        // 00000000420C: D0C9005E 00023B1C
	s_mov_b32 s92, -1                                          // 000000004214: BEDC00C1
	s_mov_b32 s93, -1                                          // 000000004218: BEDD00C1
	v_and_b32_e32 v28, 15, v0                                  // 00000000421C: 2638008F
	v_mov_b32_e32 v29, s100                                    // 000000004220: 7E3A0264
	v_lshrrev_b32_e32 v29, 3, v29                              // 000000004224: 203A3A83
	v_cmp_lt_u32_e64 s[96:97], v28, v29                        // 000000004228: D0C90060 00023B1C
	v_and_b32_e32 v28, 31, v0                                  // 000000004230: 2638009F
	v_lshrrev_b32_e32 v28, 2, v28                              // 000000004234: 20383882
	v_mov_b32_e32 v29, s100                                    // 000000004238: 7E3A0264
	v_sub_u32_e64 v29, v29, 64                                 // 00000000423C: D135001D 0001811D
	v_lshrrev_b32_e32 v29, 3, v29                              // 000000004244: 203A3A83
	v_cmp_lt_u32_e64 s[98:99], v28, v29                        // 000000004248: D0C90062 00023B1C

0000000000004250 <label_0114>:
	s_mov_b32 m0, s80                                          // 000000004250: BEFC0050
	s_mov_b32 s66, 0                                           // 000000004254: BEC20080
	v_mov_b32_e32 v151, 0xff800000                             // 000000004258: 7F2E02FF FF800000
	s_mov_b32 s74, 0                                           // 000000004260: BECA0080
	s_mul_i32 s68, 16, s70                                     // 000000004264: 92444690
	s_mov_b32 s69, 16                                          // 000000004268: BEC50090
	s_mul_i32 s60, s2, s51                                     // 00000000426C: 923C3302
	s_mul_i32 s61, s45, s5                                     // 000000004270: 923D052D
	s_add_u32 s54, s60, s61                                    // 000000004274: 80363D3C
	s_mul_i32 s61, s3, s52                                     // 000000004278: 923D3403
	s_mov_b32 s55, s61                                         // 00000000427C: BEB7003D
	s_mul_i32 s60, 0xc0, s2                                    // 000000004280: 923C02FF 000000C0
	s_mul_i32 s60, s70, s60                                    // 000000004288: 923C3C46
	s_add_u32 s55, s60, s55                                    // 00000000428C: 8037373C
	s_mov_b32 s56, s55                                         // 000000004290: BEB80037
	s_mul_i32 s59, 0xc0, s2                                    // 000000004294: 923B02FF 000000C0
	s_add_u32 s73, 16, s59                                     // 00000000429C: 80493B90
	s_cmp_lt_u32 s53, s70                                      // 0000000042A0: BF0A4635
	s_cbranch_scc0 label_014E                                  // 0000000042A4: BF840024
	s_mov_b32 s71, s53                                         // 0000000042A8: BEC70035
	v_cvt_f32_u32_e32 v28, s100                                // 0000000042AC: 7E380C64
	s_sub_i32 s60, 0, s100                                     // 0000000042B0: 81BC6480
	v_rcp_iflag_f32_e32 v28, v28                               // 0000000042B4: 7E38471C
	s_nop 0                                                    // 0000000042B8: BF800000
	v_mul_f32_e32 v28, 0x4f7ffffe, v28                         // 0000000042BC: 0A3838FF 4F7FFFFE
	v_cvt_u32_f32_e32 v28, v28                                 // 0000000042C4: 7E380F1C
	v_mul_lo_u32 v29, s60, v28                                 // 0000000042C8: D285001D 0002383C
	v_mul_hi_u32 v29, v28, v29                                 // 0000000042D0: D286001D 00023B1C
	v_add_u32_e32 v28, v28, v29                                // 0000000042D8: 68383B1C
	v_mul_hi_u32 v28, s71, v28                                 // 0000000042DC: D286001C 00023847
	v_mul_lo_u32 v29, v28, s100                                // 0000000042E4: D285001D 0000C91C
	v_sub_u32_e32 v31, s71, v29                                // 0000000042EC: 6A3E3A47
	v_add_u32_e32 v30, 1, v28                                  // 0000000042F0: 683C3881
	v_cmp_le_u32_e32 vcc, s100, v31                            // 0000000042F4: 7D963E64
	v_subrev_u32_e32 v29, s100, v31                            // 0000000042F8: 6C3A3E64
	s_nop 0                                                    // 0000000042FC: BF800000
	v_cndmask_b32_e32 v28, v28, v30, vcc                       // 000000004300: 00383D1C
	v_cndmask_b32_e32 v31, v31, v29, vcc                       // 000000004304: 003E3B1F
	v_add_u32_e32 v29, 1, v28                                  // 000000004308: 683A3881
	v_cmp_le_u32_e32 vcc, s100, v31                            // 00000000430C: 7D963E64
	s_nop 1                                                    // 000000004310: BF800001
	v_cndmask_b32_e32 v31, v28, v29, vcc                       // 000000004314: 003E3B1C
	s_nop 3                                                    // 000000004318: BF800003
	v_readfirstlane_b32 s72, v31                               // 00000000431C: 7E90051F
	s_nop 3                                                    // 000000004320: BF800003
	s_mul_i32 s62, s4, s72                                     // 000000004324: 923E4804
	s_lshr_b32 s62, s62, 1                                     // 000000004328: 8F3E813E
	s_mul_i32 s62, s62, s50                                    // 00000000432C: 923E323E
	s_lshl_b32 s62, s62, 2                                     // 000000004330: 8E3E823E
	s_branch label_016F                                        // 000000004334: BF820021

0000000000004338 <label_014E>:
	s_mov_b32 s71, s53                                         // 000000004338: BEC70035
	v_cvt_f32_u32_e32 v28, s100                                // 00000000433C: 7E380C64
	s_sub_i32 s60, 0, s100                                     // 000000004340: 81BC6480
	v_rcp_iflag_f32_e32 v28, v28                               // 000000004344: 7E38471C
	s_nop 0                                                    // 000000004348: BF800000
	v_mul_f32_e32 v28, 0x4f7ffffe, v28                         // 00000000434C: 0A3838FF 4F7FFFFE
	v_cvt_u32_f32_e32 v28, v28                                 // 000000004354: 7E380F1C
	v_mul_lo_u32 v29, s60, v28                                 // 000000004358: D285001D 0002383C
	v_mul_hi_u32 v29, v28, v29                                 // 000000004360: D286001D 00023B1C
	v_add_u32_e32 v28, v28, v29                                // 000000004368: 68383B1C
	v_mul_hi_u32 v28, s71, v28                                 // 00000000436C: D286001C 00023847
	v_mul_lo_u32 v29, v28, s100                                // 000000004374: D285001D 0000C91C
	v_sub_u32_e32 v31, s71, v29                                // 00000000437C: 6A3E3A47
	v_add_u32_e32 v30, 1, v28                                  // 000000004380: 683C3881
	v_cmp_le_u32_e32 vcc, s100, v31                            // 000000004384: 7D963E64
	v_subrev_u32_e32 v29, s100, v31                            // 000000004388: 6C3A3E64
	s_nop 0                                                    // 00000000438C: BF800000
	v_cndmask_b32_e32 v28, v28, v30, vcc                       // 000000004390: 00383D1C
	v_cndmask_b32_e32 v31, v31, v29, vcc                       // 000000004394: 003E3B1F
	v_add_u32_e32 v29, 1, v28                                  // 000000004398: 683A3881
	v_cmp_le_u32_e32 vcc, s100, v31                            // 00000000439C: 7D963E64
	s_nop 1                                                    // 0000000043A0: BF800001
	v_cndmask_b32_e32 v31, v28, v29, vcc                       // 0000000043A4: 003E3B1C
	s_nop 3                                                    // 0000000043A8: BF800003
	v_readfirstlane_b32 s72, v31                               // 0000000043AC: 7E90051F
	s_nop 3                                                    // 0000000043B0: BF800003
	s_mul_i32 s62, s4, s72                                     // 0000000043B4: 923E4804
	s_lshl_b32 s62, s62, 1                                     // 0000000043B8: 8E3E813E

00000000000043bc <label_016F>:
	s_mul_i32 s61, s3, s50                                     // 0000000043BC: 923D3203
	s_mul_i32 s61, 4, s61                                      // 0000000043C0: 923D3D84
	s_add_u32 s65, s61, s62                                    // 0000000043C4: 80413E3D
	s_mul_i32 s60, 0x300, s2                                   // 0000000043C8: 923C02FF 00000300
	s_add_u32 s65, s60, s65                                    // 0000000043D0: 8041413C
	s_mov_b32 s71, s7                                          // 0000000043D4: BEC70007
	v_lshrrev_b32_e32 v28, 4, v0                               // 0000000043D8: 20380084
	v_and_b32_e32 v29, 1, v28                                  // 0000000043DC: 263A3881
	v_lshlrev_b32_e32 v29, 1, v29                              // 0000000043E0: 243A3A81
	v_mul_i32_i24_e32 v29, s71, v29                            // 0000000043E4: 0C3A3A47
	v_and_b32_e32 v30, 2, v28                                  // 0000000043E8: 263C3882
	v_lshlrev_b32_e32 v30, 5, v30                              // 0000000043EC: 243C3C85
	v_add_u32_e32 v29, v30, v29                                // 0000000043F0: 683A3B1E
	v_and_b32_e32 v28, 15, v0                                  // 0000000043F4: 2638008F
	v_lshlrev_b32_e32 v28, 2, v28                              // 0000000043F8: 24383882
	v_add_u32_e32 v1, v28, v29                                 // 0000000043FC: 68023B1C
	s_and_b32 s60, 1, s47                                      // 000000004400: 863C2F81
	s_mul_i32 s60, s60, s71                                    // 000000004404: 923C473C
	s_mul_i32 s60, s60, 8                                      // 000000004408: 923C883C
	s_lshr_b32 s61, s47, 1                                     // 00000000440C: 8F3D812F
	s_mul_i32 s61, s61, 0x80                                   // 000000004410: 923DFF3D 00000080
	s_add_u32 s60, s60, s61                                    // 000000004418: 803C3D3C
	v_add_u32_e32 v1, s60, v1                                  // 00000000441C: 6802023C
	v_add_u32_e32 v2, s71, v1                                  // 000000004420: 68040247
	s_mul_i32 s60, 4, s71                                      // 000000004424: 923C4784
	v_add_u32_e32 v3, s60, v1                                  // 000000004428: 6806023C
	v_add_u32_e32 v4, s60, v2                                  // 00000000442C: 6808043C
	v_lshrrev_b32_e32 v1, 2, v1                                // 000000004430: 20020282
	v_lshrrev_b32_e32 v2, 2, v2                                // 000000004434: 20040482
	;; [unrolled: 1-line block ×3, first 2 shown]
	v_lshrrev_b32_e32 v4, 2, v4                                // 00000000443C: 20080882
	s_add_u32 s12, s54, s84                                    // 000000004440: 800C5436
	s_addc_u32 s13, 0, s85                                     // 000000004444: 820D5580
	s_mul_i32 s60, s4, s6                                      // 000000004448: 923C0604
	s_mul_hi_u32 s61, s4, s6                                   // 00000000444C: 963D0604
	s_and_b32 s61, s61, 0xffff                                 // 000000004450: 863DFF3D 0000FFFF
	s_add_u32 s12, s12, s60                                    // 000000004458: 800C3C0C
	s_addc_u32 s13, s13, s61                                   // 00000000445C: 820D3D0D
	s_add_u32 s16, s54, s86                                    // 000000004460: 80105636
	s_addc_u32 s17, 0, s87                                     // 000000004464: 82115780
	s_mul_i32 s60, s4, s6                                      // 000000004468: 923C0604
	s_mul_hi_u32 s61, s4, s6                                   // 00000000446C: 963D0604
	s_and_b32 s61, s61, 0xffff                                 // 000000004470: 863DFF3D 0000FFFF
	s_add_u32 s16, s16, s60                                    // 000000004478: 80103C10
	s_addc_u32 s17, s17, s61                                   // 00000000447C: 82113D11
	s_add_u32 s8, s55, s82                                     // 000000004480: 80085237
	s_addc_u32 s9, 0, s83                                      // 000000004484: 82095380
	s_mul_i32 s60, s4, s53                                     // 000000004488: 923C3504
	s_mul_hi_u32 s61, s4, s53                                  // 00000000448C: 963D3504
	s_and_b32 s61, s61, 0xffff                                 // 000000004490: 863DFF3D 0000FFFF
	s_add_u32 s8, s8, s60                                      // 000000004498: 80083C08
	s_addc_u32 s9, s9, s61                                     // 00000000449C: 82093D09
	s_add_u32 s20, s56, s88                                    // 0000000044A0: 80145838
	s_addc_u32 s21, 0, s89                                     // 0000000044A4: 82155980
	s_mul_i32 s60, s4, s53                                     // 0000000044A8: 923C3504
	s_mul_hi_u32 s61, s4, s53                                  // 0000000044AC: 963D3504
	s_and_b32 s61, s61, 0xffff                                 // 0000000044B0: 863DFF3D 0000FFFF
	s_add_u32 s20, s20, s60                                    // 0000000044B8: 80143C14
	s_addc_u32 s21, s21, s61                                   // 0000000044BC: 82153D15
	v_and_b32_e32 v11, 15, v0                                  // 0000000044C0: 2616008F
	v_lshlrev_b32_e32 v11, 2, v11                              // 0000000044C4: 24161682
	v_add_u32_e32 v11, s65, v11                                // 0000000044C8: 68161641
	v_lshrrev_b32_e32 v11, 2, v11                              // 0000000044CC: 20161682
	v_lshrrev_b32_e32 v28, 4, v0                               // 0000000044D0: 20380084
	v_mul_i32_i24_e32 v5, s46, v28                             // 0000000044D4: 0C0A382E
	v_lshrrev_b32_e32 v5, 2, v5                                // 0000000044D8: 200A0A82
	v_and_b32_e32 v28, 15, v0                                  // 0000000044DC: 2638008F
	v_lshlrev_b32_e32 v29, 2, v28                              // 0000000044E0: 243A3882
	v_add_u32_e32 v5, v29, v5                                  // 0000000044E4: 680A0B1D
	s_mul_i32 s60, 16, s46                                     // 0000000044E8: 923C2E90
	s_mul_i32 s60, s47, s60                                    // 0000000044EC: 923C3C2F
	v_lshlrev_b32_e32 v5, 2, v5                                // 0000000044F0: 240A0A82
	v_add_u32_e32 v5, s60, v5                                  // 0000000044F4: 680A0A3C
	s_mul_i32 s60, 0xc0, s46                                   // 0000000044F8: 923C2EFF 000000C0
	s_mul_i32 s60, s2, s60                                     // 000000004500: 923C3C02
	s_mul_i32 s61, s3, s5                                      // 000000004504: 923D0503
	s_mul_i32 s62, s4, s6                                      // 000000004508: 923E0604
	s_mul_i32 s62, s62, s44                                    // 00000000450C: 923E2C3E
	s_add_u32 s60, s60, s61                                    // 000000004510: 803C3D3C
	s_add_u32 s60, s60, s62                                    // 000000004514: 803C3E3C
	v_add_u32_e32 v5, s60, v5                                  // 000000004518: 680A0A3C
	v_lshrrev_b32_e32 v5, 2, v5                                // 00000000451C: 200A0A82
	v_mov_b32_e32 v10, v5                                      // 000000004520: 7E140305
	v_lshrrev_b32_e32 v28, 5, v0                               // 000000004524: 20380085
	v_mul_i32_i24_e32 v6, s70, v28                             // 000000004528: 0C0C3846
	v_lshrrev_b32_e32 v6, 2, v6                                // 00000000452C: 200C0C82
	v_and_b32_e32 v28, 31, v0                                  // 000000004530: 2638009F
	v_add_u32_e32 v6, v28, v6                                  // 000000004534: 680C0D1C
	s_mul_i32 s60, s47, s70                                    // 000000004538: 923C462F
	v_add_u32_e32 v6, s60, v6                                  // 00000000453C: 680C0C3C
	v_lshlrev_b32_e32 v6, 2, v6                                // 000000004540: 240C0C82
	s_mul_i32 s60, 2, s70                                      // 000000004544: 923C4682
	v_add_u32_e32 v7, s60, v6                                  // 000000004548: 680E0C3C
	s_mov_b32 s60, s55                                         // 00000000454C: BEBC0037
	s_mul_i32 s62, s4, s53                                     // 000000004550: 923E3504
	s_add_u32 s60, s60, s62                                    // 000000004554: 803C3E3C
	v_add_u32_e32 v6, s60, v6                                  // 000000004558: 680C0C3C
	v_add_u32_e32 v8, s60, v7                                  // 00000000455C: 68100E3C
	v_mov_b32_e32 v7, 0                                        // 000000004560: 7E0E0280
	v_mov_b32_e32 v9, 0                                        // 000000004564: 7E120280
	s_mul_i32 s60, 3, s2                                       // 000000004568: 923C0283
	s_lshr_b32 s61, s50, 6                                     // 00000000456C: 8F3D8632
	s_sub_i32 s72, s61, s60                                    // 000000004570: 81C83C3D
	s_cmp_lt_i32 s72, 3                                        // 000000004574: BF048348
	s_cselect_b32 s72, s72, 3                                  // 000000004578: 85488348
	v_and_b32_e32 v28, 31, v0                                  // 00000000457C: 2638009F
	v_lshrrev_b32_e32 v28, 1, v28                              // 000000004580: 20383881
	v_and_b32_e32 v29, 1, v28                                  // 000000004584: 263A3881
	v_lshlrev_b32_e32 v29, 4, v29                              // 000000004588: 243A3A84
	v_and_b32_e32 v30, 2, v28                                  // 00000000458C: 263C3882
	v_lshlrev_b32_e32 v30, 2, v30                              // 000000004590: 243C3C82
	v_add_u32_e32 v29, v30, v29                                // 000000004594: 683A3B1E
	v_and_b32_e32 v30, 12, v28                                 // 000000004598: 263C388C
	v_lshrrev_b32_e32 v30, 1, v30                              // 00000000459C: 203C3C81
	v_add_u32_e32 v29, v30, v29                                // 0000000045A0: 683A3B1E
	v_lshrrev_b32_e32 v28, 5, v0                               // 0000000045A4: 20380085
	v_mul_i32_i24_e32 v30, 0x80, v28                           // 0000000045A8: 0C3C38FF 00000080
	v_add_u32_e32 v29, v30, v29                                // 0000000045B0: 683A3B1E
	v_and_b32_e32 v30, 1, v0                                   // 0000000045B4: 263C0081
	v_add_u32_e32 v13, v30, v29                                // 0000000045B8: 681A3B1E
	s_and_b32 s60, 1, s47                                      // 0000000045BC: 863C2F81
	s_mul_i32 s60, s60, 64                                     // 0000000045C0: 923CC03C
	s_lshr_b32 s61, s47, 1                                     // 0000000045C4: 8F3D812F
	s_mul_i32 s61, s61, 0x220                                  // 0000000045C8: 923DFF3D 00000220
	s_add_u32 s60, s60, s61                                    // 0000000045D0: 803C3D3C
	v_add_u32_e32 v13, s60, v13                                // 0000000045D4: 681A1A3C
	v_lshlrev_b32_e32 v13, 2, v13                              // 0000000045D8: 241A1A82
	v_lshrrev_b32_e32 v28, 4, v0                               // 0000000045DC: 20380084
	v_and_b32_e32 v29, 1, v28                                  // 0000000045E0: 263A3881
	v_lshlrev_b32_e32 v29, 4, v29                              // 0000000045E4: 243A3A84
	v_and_b32_e32 v30, 2, v28                                  // 0000000045E8: 263C3882
	v_mul_i32_i24_e32 v30, 4, v30                              // 0000000045EC: 0C3C3C84
	v_add_u32_e32 v29, v30, v29                                // 0000000045F0: 683A3B1E
	v_and_b32_e32 v28, 15, v0                                  // 0000000045F4: 2638008F
	v_lshrrev_b32_e32 v30, 2, v28                              // 0000000045F8: 203C3882
	v_lshlrev_b32_e32 v30, 5, v30                              // 0000000045FC: 243C3C85
	v_add_u32_e32 v29, v30, v29                                // 000000004600: 683A3B1E
	v_and_b32_e32 v28, 3, v0                                   // 000000004604: 26380083
	v_and_b32_e32 v30, 1, v28                                  // 000000004608: 263C3881
	v_mul_i32_i24_e32 v30, 0x108, v30                          // 00000000460C: 0C3C3CFF 00000108
	v_add_u32_e32 v29, v30, v29                                // 000000004614: 683A3B1E
	v_and_b32_e32 v30, 2, v28                                  // 000000004618: 263C3882
	v_lshlrev_b32_e32 v30, 1, v30                              // 00000000461C: 243C3C81
	v_add_u32_e32 v12, v30, v29                                // 000000004620: 68183B1E
	v_lshlrev_b32_e32 v12, 2, v12                              // 000000004624: 24181882
	s_mul_i32 s60, s47, 0x1100                                 // 000000004628: 923CFF2F 00001100
	v_add_u32_e32 v24, s60, v12                                // 000000004630: 6830183C
	v_lshrrev_b32_e32 v28, 5, v0                               // 000000004634: 20380085
	v_mul_i32_i24_e32 v15, 0x80, v28                           // 000000004638: 0C1E38FF 00000080
	v_and_b32_e32 v28, 31, v0                                  // 000000004640: 2638009F
	v_and_b32_e32 v29, 7, v28                                  // 000000004644: 263A3887
	v_and_b32_e32 v30, 1, v29                                  // 000000004648: 263C3A81
	v_lshlrev_b32_e32 v30, 2, v30                              // 00000000464C: 243C3C82
	v_add_u32_e32 v15, v30, v15                                // 000000004650: 681E1F1E
	v_and_b32_e32 v30, 2, v29                                  // 000000004654: 263C3A82
	v_lshlrev_b32_e32 v30, 3, v30                              // 000000004658: 243C3C83
	v_add_u32_e32 v15, v30, v15                                // 00000000465C: 681E1F1E
	v_and_b32_e32 v30, 4, v29                                  // 000000004660: 263C3A84
	v_lshlrev_b32_e32 v30, 1, v30                              // 000000004664: 243C3C81
	v_add_u32_e32 v15, v30, v15                                // 000000004668: 681E1F1E
	v_lshrrev_b32_e32 v29, 3, v28                              // 00000000466C: 203A3883
	v_and_b32_e32 v30, 1, v29                                  // 000000004670: 263C3A81
	v_lshlrev_b32_e32 v30, 1, v30                              // 000000004674: 243C3C81
	v_add_u32_e32 v15, v30, v15                                // 000000004678: 681E1F1E
	v_and_b32_e32 v30, 2, v29                                  // 00000000467C: 263C3A82
	v_lshrrev_b32_e32 v30, 1, v30                              // 000000004680: 203C3C81
	v_add_u32_e32 v15, v30, v15                                // 000000004684: 681E1F1E
	s_and_b32 s60, 1, s47                                      // 000000004688: 863C2F81
	s_mul_i32 s60, s60, 64                                     // 00000000468C: 923CC03C
	s_lshr_b32 s61, s47, 1                                     // 000000004690: 8F3D812F
	s_mul_i32 s61, s61, 0x220                                  // 000000004694: 923DFF3D 00000220
	s_add_u32 s60, s60, s61                                    // 00000000469C: 803C3D3C
	v_add_u32_e32 v15, s60, v15                                // 0000000046A0: 681E1E3C
	v_lshlrev_b32_e32 v15, 2, v15                              // 0000000046A4: 241E1E82
	v_and_b32_e32 v28, 15, v0                                  // 0000000046A8: 2638008F
	v_and_b32_e32 v30, 1, v28                                  // 0000000046AC: 263C3881
	v_mul_i32_i24_e32 v14, 0x108, v30                          // 0000000046B0: 0C1C3CFF 00000108
	v_and_b32_e32 v30, 2, v28                                  // 0000000046B8: 263C3882
	v_lshlrev_b32_e32 v30, 1, v30                              // 0000000046BC: 243C3C81
	v_add_u32_e32 v14, v30, v14                                // 0000000046C0: 681C1D1E
	v_and_b32_e32 v30, 4, v28                                  // 0000000046C4: 263C3884
	v_lshlrev_b32_e32 v30, 2, v30                              // 0000000046C8: 243C3C82
	v_add_u32_e32 v14, v30, v14                                // 0000000046CC: 681C1D1E
	v_and_b32_e32 v30, 8, v28                                  // 0000000046D0: 263C3888
	v_add_u32_e32 v14, v30, v14                                // 0000000046D4: 681C1D1E
	v_lshrrev_b32_e32 v28, 4, v0                               // 0000000046D8: 20380084
	v_and_b32_e32 v30, 1, v28                                  // 0000000046DC: 263C3881
	v_lshlrev_b32_e32 v30, 5, v30                              // 0000000046E0: 243C3C85
	v_add_u32_e32 v14, v30, v14                                // 0000000046E4: 681C1D1E
	v_and_b32_e32 v29, 2, v28                                  // 0000000046E8: 263A3882
	v_mul_i32_i24_e32 v30, 32, v29                             // 0000000046EC: 0C3C3AA0
	v_mul_i32_i24_e32 v29, 0x220, v29                          // 0000000046F0: 0C3A3AFF 00000220
	v_add_u32_e32 v25, v29, v14                                // 0000000046F8: 68321D1D
	v_add_u32_e32 v14, v30, v14                                // 0000000046FC: 681C1D1E
	v_lshlrev_b32_e32 v14, 2, v14                              // 000000004700: 241C1C82
	v_lshlrev_b32_e32 v25, 2, v25                              // 000000004704: 24323282
	s_and_b32 s60, 1, s47                                      // 000000004708: 863C2F81
	s_mul_i32 s60, s60, 0x200                                  // 00000000470C: 923CFF3C 00000200
	s_lshr_b32 s61, s47, 1                                     // 000000004714: 8F3D812F
	s_mul_i32 s61, s61, 0x880                                  // 000000004718: 923DFF3D 00000880
	s_add_u32 s60, s60, s61                                    // 000000004720: 803C3D3C
	v_add_u32_e32 v25, s60, v25                                // 000000004724: 6832323C
	v_lshrrev_b32_e32 v28, 4, v0                               // 000000004728: 20380084
	v_mul_i32_i24_e32 v23, 4, v28                              // 00000000472C: 0C2E3884
	v_and_b32_e32 v29, 3, v0                                   // 000000004730: 263A0083
	v_add_u32_e32 v23, v29, v23                                // 000000004734: 682E2F1D
	v_lshlrev_b32_e32 v23, 2, v23                              // 000000004738: 242E2E82
	v_lshrrev_b32_e32 v28, 5, v0                               // 00000000473C: 20380085
	v_mul_i32_i24_e32 v21, 2, v28                              // 000000004740: 0C2A3882
	v_and_b32_e32 v28, 31, v0                                  // 000000004744: 2638009F
	v_lshrrev_b32_e32 v28, 1, v28                              // 000000004748: 20383881
	v_mul_i32_i24_e32 v29, 34, v28                             // 00000000474C: 0C3A38A2
	v_add_u32_e32 v21, v29, v21                                // 000000004750: 682A2B1D
	v_and_b32_e32 v29, 1, v0                                   // 000000004754: 263A0081
	v_add_u32_e32 v21, v29, v21                                // 000000004758: 682A2B1D
	s_mul_i32 s60, s47, 8                                      // 00000000475C: 923C882F
	v_add_u32_e32 v21, s60, v21                                // 000000004760: 682A2A3C
	v_lshlrev_b32_e32 v21, 2, v21                              // 000000004764: 242A2A82
	v_lshrrev_b32_e32 v28, 4, v0                               // 000000004768: 20380084
	v_mul_i32_i24_e32 v22, 34, v28                             // 00000000476C: 0C2C38A2
	v_and_b32_e32 v28, 15, v0                                  // 000000004770: 2638008F
	v_mul_i32_i24_e32 v29, 2, v28                              // 000000004774: 0C3A3882
	v_add_u32_e32 v22, v29, v22                                // 000000004778: 682C2D1D
	s_mul_i32 s60, s47, 0x110                                  // 00000000477C: 923CFF2F 00000110
	v_add_u32_e32 v22, s60, v22                                // 000000004784: 682C2C3C
	v_lshlrev_b32_e32 v22, 2, v22                              // 000000004788: 242C2C82
	v_lshrrev_b32_e32 v28, 5, v0                               // 00000000478C: 20380085
	v_mul_i32_i24_e32 v19, 64, v28                             // 000000004790: 0C2638C0
	v_and_b32_e32 v28, 31, v0                                  // 000000004794: 2638009F
	v_and_b32_e32 v28, 3, v28                                  // 000000004798: 26383883
	v_and_b32_e32 v29, 1, v28                                  // 00000000479C: 263A3881
	v_mul_i32_i24_e32 v29, 4, v29                              // 0000000047A0: 0C3A3A84
	v_add_u32_e32 v19, v29, v19                                // 0000000047A4: 6826271D
	v_and_b32_e32 v29, 2, v28                                  // 0000000047A8: 263A3882
	v_mul_i32_i24_e32 v29, 0x44, v29                           // 0000000047AC: 0C3A3AFF 00000044
	v_add_u32_e32 v19, v29, v19                                // 0000000047B4: 6826271D
	v_and_b32_e32 v28, 31, v0                                  // 0000000047B8: 2638009F
	v_lshrrev_b32_e32 v28, 2, v28                              // 0000000047BC: 20383882
	v_lshrrev_b32_e32 v30, 2, v28                              // 0000000047C0: 203C3882
	v_mul_i32_i24_e32 v29, 16, v30                             // 0000000047C4: 0C3A3C90
	v_add_u32_e32 v19, v29, v19                                // 0000000047C8: 6826271D
	v_and_b32_e32 v29, 2, v28                                  // 0000000047CC: 263A3882
	v_lshlrev_b32_e32 v29, 4, v29                              // 0000000047D0: 243A3A84
	v_add_u32_e32 v19, v29, v19                                // 0000000047D4: 6826271D
	v_and_b32_e32 v29, 1, v28                                  // 0000000047D8: 263A3881
	v_xor_b32_e32 v29, v30, v29                                // 0000000047DC: 2A3A3B1E
	v_mul_i32_i24_e32 v29, 8, v29                              // 0000000047E0: 0C3A3A88
	v_add_u32_e32 v19, v29, v19                                // 0000000047E4: 6826271D
	v_lshlrev_b32_e32 v19, 2, v19                              // 0000000047E8: 24262682
	v_lshrrev_b32_e32 v28, 5, v0                               // 0000000047EC: 20380085
	v_mul_i32_i24_e32 v20, 32, v28                             // 0000000047F0: 0C2838A0
	v_and_b32_e32 v28, 31, v0                                  // 0000000047F4: 2638009F
	v_and_b32_e32 v28, 3, v28                                  // 0000000047F8: 26383883
	v_and_b32_e32 v29, 1, v28                                  // 0000000047FC: 263A3881
	v_mul_i32_i24_e32 v29, 4, v29                              // 000000004800: 0C3A3A84
	v_add_u32_e32 v20, v29, v20                                // 000000004804: 6828291D
	v_and_b32_e32 v29, 2, v28                                  // 000000004808: 263A3882
	v_lshrrev_b32_e32 v29, 1, v29                              // 00000000480C: 203A3A81
	v_add_u32_e32 v20, v29, v20                                // 000000004810: 6828291D
	v_and_b32_e32 v28, 31, v0                                  // 000000004814: 2638009F
	v_lshrrev_b32_e32 v28, 2, v28                              // 000000004818: 20383882
	v_and_b32_e32 v30, 1, v28                                  // 00000000481C: 263C3881
	v_mul_i32_i24_e32 v29, 16, v30                             // 000000004820: 0C3A3C90
	v_add_u32_e32 v20, v29, v20                                // 000000004824: 6828291D
	v_and_b32_e32 v29, 2, v28                                  // 000000004828: 263A3882
	v_add_u32_e32 v20, v29, v20                                // 00000000482C: 6828291D
	v_lshrrev_b32_e32 v29, 2, v28                              // 000000004830: 203A3882
	v_xor_b32_e32 v29, v30, v29                                // 000000004834: 2A3A3B1E
	v_mul_i32_i24_e32 v29, 8, v29                              // 000000004838: 0C3A3A88
	v_add_u32_e32 v20, v29, v20                                // 00000000483C: 6828291D
	s_and_b32 s60, 1, s47                                      // 000000004840: 863C2F81
	s_mul_i32 s60, s60, 64                                     // 000000004844: 923CC03C
	s_lshr_b32 s61, s47, 1                                     // 000000004848: 8F3D812F
	s_mul_i32 s61, s61, 0x120                                  // 00000000484C: 923DFF3D 00000120
	s_add_u32 s60, s60, s61                                    // 000000004854: 803C3D3C
	v_add_u32_e32 v20, s60, v20                                // 000000004858: 6828283C
	v_lshlrev_b32_e32 v20, 2, v20                              // 00000000485C: 24282882
	v_mov_b32_e32 v152, 0                                      // 000000004860: 7F300280
	s_mov_b64 exec, s[94:95]                                   // 000000004864: BEFE015E
	buffer_load_dword v152, v1, s[12:15], 0 idxen              // 000000004868: E0502000 80039801
	s_mov_b64 exec, s[92:93]                                   // 000000004870: BEFE015C
	v_mov_b32_e32 v153, 0                                      // 000000004874: 7F320280
	s_mov_b64 exec, s[94:95]                                   // 000000004878: BEFE015E
	buffer_load_dword v153, v2, s[12:15], 0 idxen              // 00000000487C: E0502000 80039902
	s_mov_b64 exec, s[92:93]                                   // 000000004884: BEFE015C
	v_mov_b32_e32 v154, 0                                      // 000000004888: 7F340280
	s_mov_b64 exec, s[94:95]                                   // 00000000488C: BEFE015E
	buffer_load_dword v154, v3, s[12:15], 0 idxen              // 000000004890: E0502000 80039A03
	s_mov_b64 exec, s[92:93]                                   // 000000004898: BEFE015C
	v_mov_b32_e32 v155, 0                                      // 00000000489C: 7F360280
	s_mov_b64 exec, s[94:95]                                   // 0000000048A0: BEFE015E
	buffer_load_dword v155, v4, s[12:15], 0 idxen              // 0000000048A4: E0502000 80039B04
	s_mov_b64 exec, s[92:93]                                   // 0000000048AC: BEFE015C
	s_mul_i32 s60, 16, s7                                      // 0000000048B0: 923C0790
	s_cmp_lt_i32 0, s72                                        // 0000000048B4: BF044880
	s_cselect_b32 s60, s60, 0                                  // 0000000048B8: 853C803C
	s_add_u32 s12, s60, s12                                    // 0000000048BC: 800C0C3C
	s_addc_u32 s13, 0, s13                                     // 0000000048C0: 820D0D80
	v_mov_b32_e32 v156, 0                                      // 0000000048C4: 7F380280
	s_mov_b64 exec, s[94:95]                                   // 0000000048C8: BEFE015E
	buffer_load_dword v156, v1, s[12:15], 0 idxen              // 0000000048CC: E0502000 80039C01
	s_mov_b64 exec, s[92:93]                                   // 0000000048D4: BEFE015C
	v_mov_b32_e32 v157, 0                                      // 0000000048D8: 7F3A0280
	s_mov_b64 exec, s[94:95]                                   // 0000000048DC: BEFE015E
	buffer_load_dword v157, v2, s[12:15], 0 idxen              // 0000000048E0: E0502000 80039D02
	s_mov_b64 exec, s[92:93]                                   // 0000000048E8: BEFE015C
	v_mov_b32_e32 v158, 0                                      // 0000000048EC: 7F3C0280
	s_mov_b64 exec, s[94:95]                                   // 0000000048F0: BEFE015E
	buffer_load_dword v158, v3, s[12:15], 0 idxen              // 0000000048F4: E0502000 80039E03
	s_mov_b64 exec, s[92:93]                                   // 0000000048FC: BEFE015C
	v_mov_b32_e32 v159, 0                                      // 000000004900: 7F3E0280
	s_mov_b64 exec, s[94:95]                                   // 000000004904: BEFE015E
	buffer_load_dword v159, v4, s[12:15], 0 idxen              // 000000004908: E0502000 80039F04
	s_mov_b64 exec, s[92:93]                                   // 000000004910: BEFE015C
	s_mul_i32 s60, 16, s7                                      // 000000004914: 923C0790
	s_cmp_lt_i32 0, s72                                        // 000000004918: BF044880
	s_cselect_b32 s60, s60, 0                                  // 00000000491C: 853C803C
	s_add_u32 s12, s60, s12                                    // 000000004920: 800C0C3C
	s_addc_u32 s13, 0, s13                                     // 000000004924: 820D0D80
	v_mov_b32_e32 v160, 0                                      // 000000004928: 7F400280
	s_mov_b64 exec, s[94:95]                                   // 00000000492C: BEFE015E
	buffer_load_dword v160, v1, s[12:15], 0 idxen              // 000000004930: E0502000 8003A001
	s_mov_b64 exec, s[92:93]                                   // 000000004938: BEFE015C
	v_mov_b32_e32 v161, 0                                      // 00000000493C: 7F420280
	s_mov_b64 exec, s[94:95]                                   // 000000004940: BEFE015E
	buffer_load_dword v161, v2, s[12:15], 0 idxen              // 000000004944: E0502000 8003A102
	s_mov_b64 exec, s[92:93]                                   // 00000000494C: BEFE015C
	v_mov_b32_e32 v162, 0                                      // 000000004950: 7F440280
	s_mov_b64 exec, s[94:95]                                   // 000000004954: BEFE015E
	buffer_load_dword v162, v3, s[12:15], 0 idxen              // 000000004958: E0502000 8003A203
	s_mov_b64 exec, s[92:93]                                   // 000000004960: BEFE015C
	v_mov_b32_e32 v163, 0                                      // 000000004964: 7F460280
	s_mov_b64 exec, s[94:95]                                   // 000000004968: BEFE015E
	buffer_load_dword v163, v4, s[12:15], 0 idxen              // 00000000496C: E0502000 8003A304
	s_mov_b64 exec, s[92:93]                                   // 000000004974: BEFE015C
	s_mul_i32 s60, 16, s7                                      // 000000004978: 923C0790
	s_cmp_lt_i32 0, s72                                        // 00000000497C: BF044880
	s_cselect_b32 s60, s60, 0                                  // 000000004980: 853C803C
	s_add_u32 s12, s60, s12                                    // 000000004984: 800C0C3C
	s_addc_u32 s13, 0, s13                                     // 000000004988: 820D0D80
	v_mov_b32_e32 v164, 0                                      // 00000000498C: 7F480280
	s_mov_b64 exec, s[94:95]                                   // 000000004990: BEFE015E
	buffer_load_dword v164, v1, s[12:15], 0 idxen              // 000000004994: E0502000 8003A401
	s_mov_b64 exec, s[92:93]                                   // 00000000499C: BEFE015C
	v_mov_b32_e32 v165, 0                                      // 0000000049A0: 7F4A0280
	s_mov_b64 exec, s[94:95]                                   // 0000000049A4: BEFE015E
	buffer_load_dword v165, v2, s[12:15], 0 idxen              // 0000000049A8: E0502000 8003A502
	s_mov_b64 exec, s[92:93]                                   // 0000000049B0: BEFE015C
	v_mov_b32_e32 v166, 0                                      // 0000000049B4: 7F4C0280
	s_mov_b64 exec, s[94:95]                                   // 0000000049B8: BEFE015E
	buffer_load_dword v166, v3, s[12:15], 0 idxen              // 0000000049BC: E0502000 8003A603
	s_mov_b64 exec, s[92:93]                                   // 0000000049C4: BEFE015C
	v_mov_b32_e32 v167, 0                                      // 0000000049C8: 7F4E0280
	s_mov_b64 exec, s[94:95]                                   // 0000000049CC: BEFE015E
	buffer_load_dword v167, v4, s[12:15], 0 idxen              // 0000000049D0: E0502000 8003A704
	s_mov_b64 exec, s[92:93]                                   // 0000000049D8: BEFE015C
	s_mul_i32 s60, 16, s7                                      // 0000000049DC: 923C0790
	s_cmp_lt_i32 1, s72                                        // 0000000049E0: BF044881
	s_cselect_b32 s60, s60, 0                                  // 0000000049E4: 853C803C
	s_add_u32 s12, s60, s12                                    // 0000000049E8: 800C0C3C
	s_addc_u32 s13, 0, s13                                     // 0000000049EC: 820D0D80
	v_mov_b32_e32 v168, 0                                      // 0000000049F0: 7F500280
	s_mov_b64 exec, s[94:95]                                   // 0000000049F4: BEFE015E
	buffer_load_dword v168, v1, s[12:15], 0 idxen              // 0000000049F8: E0502000 8003A801
	s_mov_b64 exec, s[92:93]                                   // 000000004A00: BEFE015C
	v_mov_b32_e32 v169, 0                                      // 000000004A04: 7F520280
	s_mov_b64 exec, s[94:95]                                   // 000000004A08: BEFE015E
	buffer_load_dword v169, v2, s[12:15], 0 idxen              // 000000004A0C: E0502000 8003A902
	s_mov_b64 exec, s[92:93]                                   // 000000004A14: BEFE015C
	v_mov_b32_e32 v170, 0                                      // 000000004A18: 7F540280
	s_mov_b64 exec, s[94:95]                                   // 000000004A1C: BEFE015E
	buffer_load_dword v170, v3, s[12:15], 0 idxen              // 000000004A20: E0502000 8003AA03
	s_mov_b64 exec, s[92:93]                                   // 000000004A28: BEFE015C
	v_mov_b32_e32 v171, 0                                      // 000000004A2C: 7F560280
	s_mov_b64 exec, s[94:95]                                   // 000000004A30: BEFE015E
	buffer_load_dword v171, v4, s[12:15], 0 idxen              // 000000004A34: E0502000 8003AB04
	s_mov_b64 exec, s[92:93]                                   // 000000004A3C: BEFE015C
	s_mul_i32 s60, 16, s7                                      // 000000004A40: 923C0790
	s_cmp_lt_i32 1, s72                                        // 000000004A44: BF044881
	s_cselect_b32 s60, s60, 0                                  // 000000004A48: 853C803C
	s_add_u32 s12, s60, s12                                    // 000000004A4C: 800C0C3C
	s_addc_u32 s13, 0, s13                                     // 000000004A50: 820D0D80
	v_mov_b32_e32 v172, 0                                      // 000000004A54: 7F580280
	s_mov_b64 exec, s[94:95]                                   // 000000004A58: BEFE015E
	buffer_load_dword v172, v1, s[12:15], 0 idxen              // 000000004A5C: E0502000 8003AC01
	s_mov_b64 exec, s[92:93]                                   // 000000004A64: BEFE015C
	v_mov_b32_e32 v173, 0                                      // 000000004A68: 7F5A0280
	s_mov_b64 exec, s[94:95]                                   // 000000004A6C: BEFE015E
	buffer_load_dword v173, v2, s[12:15], 0 idxen              // 000000004A70: E0502000 8003AD02
	s_mov_b64 exec, s[92:93]                                   // 000000004A78: BEFE015C
	v_mov_b32_e32 v174, 0                                      // 000000004A7C: 7F5C0280
	s_mov_b64 exec, s[94:95]                                   // 000000004A80: BEFE015E
	buffer_load_dword v174, v3, s[12:15], 0 idxen              // 000000004A84: E0502000 8003AE03
	s_mov_b64 exec, s[92:93]                                   // 000000004A8C: BEFE015C
	v_mov_b32_e32 v175, 0                                      // 000000004A90: 7F5E0280
	s_mov_b64 exec, s[94:95]                                   // 000000004A94: BEFE015E
	buffer_load_dword v175, v4, s[12:15], 0 idxen              // 000000004A98: E0502000 8003AF04
	s_mov_b64 exec, s[92:93]                                   // 000000004AA0: BEFE015C
	s_mul_i32 s60, 16, s7                                      // 000000004AA4: 923C0790
	s_cmp_lt_i32 1, s72                                        // 000000004AA8: BF044881
	s_cselect_b32 s60, s60, 0                                  // 000000004AAC: 853C803C
	s_add_u32 s12, s60, s12                                    // 000000004AB0: 800C0C3C
	s_addc_u32 s13, 0, s13                                     // 000000004AB4: 820D0D80
	v_mov_b32_e32 v176, 0                                      // 000000004AB8: 7F600280
	s_mov_b64 exec, s[94:95]                                   // 000000004ABC: BEFE015E
	buffer_load_dword v176, v1, s[12:15], 0 idxen              // 000000004AC0: E0502000 8003B001
	s_mov_b64 exec, s[92:93]                                   // 000000004AC8: BEFE015C
	v_mov_b32_e32 v177, 0                                      // 000000004ACC: 7F620280
	s_mov_b64 exec, s[94:95]                                   // 000000004AD0: BEFE015E
	buffer_load_dword v177, v2, s[12:15], 0 idxen              // 000000004AD4: E0502000 8003B102
	s_mov_b64 exec, s[92:93]                                   // 000000004ADC: BEFE015C
	v_mov_b32_e32 v178, 0                                      // 000000004AE0: 7F640280
	s_mov_b64 exec, s[94:95]                                   // 000000004AE4: BEFE015E
	buffer_load_dword v178, v3, s[12:15], 0 idxen              // 000000004AE8: E0502000 8003B203
	s_mov_b64 exec, s[92:93]                                   // 000000004AF0: BEFE015C
	v_mov_b32_e32 v179, 0                                      // 000000004AF4: 7F660280
	s_mov_b64 exec, s[94:95]                                   // 000000004AF8: BEFE015E
	buffer_load_dword v179, v4, s[12:15], 0 idxen              // 000000004AFC: E0502000 8003B304
	s_mov_b64 exec, s[92:93]                                   // 000000004B04: BEFE015C
	s_mul_i32 s60, 16, s7                                      // 000000004B08: 923C0790
	s_cmp_lt_i32 1, s72                                        // 000000004B0C: BF044881
	s_cselect_b32 s60, s60, 0                                  // 000000004B10: 853C803C
	s_add_u32 s12, s60, s12                                    // 000000004B14: 800C0C3C
	s_addc_u32 s13, 0, s13                                     // 000000004B18: 820D0D80
	v_mov_b32_e32 v180, 0                                      // 000000004B1C: 7F680280
	s_mov_b64 exec, s[94:95]                                   // 000000004B20: BEFE015E
	buffer_load_dword v180, v1, s[12:15], 0 idxen              // 000000004B24: E0502000 8003B401
	s_mov_b64 exec, s[92:93]                                   // 000000004B2C: BEFE015C
	v_mov_b32_e32 v181, 0                                      // 000000004B30: 7F6A0280
	s_mov_b64 exec, s[94:95]                                   // 000000004B34: BEFE015E
	buffer_load_dword v181, v2, s[12:15], 0 idxen              // 000000004B38: E0502000 8003B502
	s_mov_b64 exec, s[92:93]                                   // 000000004B40: BEFE015C
	v_mov_b32_e32 v182, 0                                      // 000000004B44: 7F6C0280
	s_mov_b64 exec, s[94:95]                                   // 000000004B48: BEFE015E
	buffer_load_dword v182, v3, s[12:15], 0 idxen              // 000000004B4C: E0502000 8003B603
	s_mov_b64 exec, s[92:93]                                   // 000000004B54: BEFE015C
	v_mov_b32_e32 v183, 0                                      // 000000004B58: 7F6E0280
	s_mov_b64 exec, s[94:95]                                   // 000000004B5C: BEFE015E
	buffer_load_dword v183, v4, s[12:15], 0 idxen              // 000000004B60: E0502000 8003B704
	s_mov_b64 exec, s[92:93]                                   // 000000004B68: BEFE015C
	s_mul_i32 s60, 16, s7                                      // 000000004B6C: 923C0790
	s_cmp_lt_i32 2, s72                                        // 000000004B70: BF044882
	s_cselect_b32 s60, s60, 0                                  // 000000004B74: 853C803C
	s_add_u32 s12, s60, s12                                    // 000000004B78: 800C0C3C
	s_addc_u32 s13, 0, s13                                     // 000000004B7C: 820D0D80
	v_mov_b32_e32 v184, 0                                      // 000000004B80: 7F700280
	s_mov_b64 exec, s[94:95]                                   // 000000004B84: BEFE015E
	buffer_load_dword v184, v1, s[12:15], 0 idxen              // 000000004B88: E0502000 8003B801
	s_mov_b64 exec, s[92:93]                                   // 000000004B90: BEFE015C
	v_mov_b32_e32 v185, 0                                      // 000000004B94: 7F720280
	s_mov_b64 exec, s[94:95]                                   // 000000004B98: BEFE015E
	buffer_load_dword v185, v2, s[12:15], 0 idxen              // 000000004B9C: E0502000 8003B902
	s_mov_b64 exec, s[92:93]                                   // 000000004BA4: BEFE015C
	v_mov_b32_e32 v186, 0                                      // 000000004BA8: 7F740280
	s_mov_b64 exec, s[94:95]                                   // 000000004BAC: BEFE015E
	buffer_load_dword v186, v3, s[12:15], 0 idxen              // 000000004BB0: E0502000 8003BA03
	s_mov_b64 exec, s[92:93]                                   // 000000004BB8: BEFE015C
	v_mov_b32_e32 v187, 0                                      // 000000004BBC: 7F760280
	s_mov_b64 exec, s[94:95]                                   // 000000004BC0: BEFE015E
	buffer_load_dword v187, v4, s[12:15], 0 idxen              // 000000004BC4: E0502000 8003BB04
	s_mov_b64 exec, s[92:93]                                   // 000000004BCC: BEFE015C
	s_mul_i32 s60, 16, s7                                      // 000000004BD0: 923C0790
	s_cmp_lt_i32 2, s72                                        // 000000004BD4: BF044882
	s_cselect_b32 s60, s60, 0                                  // 000000004BD8: 853C803C
	s_add_u32 s12, s60, s12                                    // 000000004BDC: 800C0C3C
	s_addc_u32 s13, 0, s13                                     // 000000004BE0: 820D0D80
	v_mov_b32_e32 v188, 0                                      // 000000004BE4: 7F780280
	s_mov_b64 exec, s[94:95]                                   // 000000004BE8: BEFE015E
	buffer_load_dword v188, v1, s[12:15], 0 idxen              // 000000004BEC: E0502000 8003BC01
	s_mov_b64 exec, s[92:93]                                   // 000000004BF4: BEFE015C
	v_mov_b32_e32 v189, 0                                      // 000000004BF8: 7F7A0280
	s_mov_b64 exec, s[94:95]                                   // 000000004BFC: BEFE015E
	buffer_load_dword v189, v2, s[12:15], 0 idxen              // 000000004C00: E0502000 8003BD02
	s_mov_b64 exec, s[92:93]                                   // 000000004C08: BEFE015C
	v_mov_b32_e32 v190, 0                                      // 000000004C0C: 7F7C0280
	s_mov_b64 exec, s[94:95]                                   // 000000004C10: BEFE015E
	buffer_load_dword v190, v3, s[12:15], 0 idxen              // 000000004C14: E0502000 8003BE03
	s_mov_b64 exec, s[92:93]                                   // 000000004C1C: BEFE015C
	v_mov_b32_e32 v191, 0                                      // 000000004C20: 7F7E0280
	s_mov_b64 exec, s[94:95]                                   // 000000004C24: BEFE015E
	buffer_load_dword v191, v4, s[12:15], 0 idxen              // 000000004C28: E0502000 8003BF04
	s_mov_b64 exec, s[92:93]                                   // 000000004C30: BEFE015C
	s_mul_i32 s60, 16, s7                                      // 000000004C34: 923C0790
	s_cmp_lt_i32 2, s72                                        // 000000004C38: BF044882
	s_cselect_b32 s60, s60, 0                                  // 000000004C3C: 853C803C
	s_add_u32 s12, s60, s12                                    // 000000004C40: 800C0C3C
	s_addc_u32 s13, 0, s13                                     // 000000004C44: 820D0D80
	v_mov_b32_e32 v192, 0                                      // 000000004C48: 7F800280
	s_mov_b64 exec, s[94:95]                                   // 000000004C4C: BEFE015E
	buffer_load_dword v192, v1, s[12:15], 0 idxen              // 000000004C50: E0502000 8003C001
	s_mov_b64 exec, s[92:93]                                   // 000000004C58: BEFE015C
	v_mov_b32_e32 v193, 0                                      // 000000004C5C: 7F820280
	s_mov_b64 exec, s[94:95]                                   // 000000004C60: BEFE015E
	buffer_load_dword v193, v2, s[12:15], 0 idxen              // 000000004C64: E0502000 8003C102
	s_mov_b64 exec, s[92:93]                                   // 000000004C6C: BEFE015C
	v_mov_b32_e32 v194, 0                                      // 000000004C70: 7F840280
	s_mov_b64 exec, s[94:95]                                   // 000000004C74: BEFE015E
	buffer_load_dword v194, v3, s[12:15], 0 idxen              // 000000004C78: E0502000 8003C203
	s_mov_b64 exec, s[92:93]                                   // 000000004C80: BEFE015C
	v_mov_b32_e32 v195, 0                                      // 000000004C84: 7F860280
	s_mov_b64 exec, s[94:95]                                   // 000000004C88: BEFE015E
	buffer_load_dword v195, v4, s[12:15], 0 idxen              // 000000004C8C: E0502000 8003C304
	s_mov_b64 exec, s[92:93]                                   // 000000004C94: BEFE015C
	s_mul_i32 s60, 16, s7                                      // 000000004C98: 923C0790
	s_cmp_lt_i32 2, s72                                        // 000000004C9C: BF044882
	s_cselect_b32 s60, s60, 0                                  // 000000004CA0: 853C803C
	s_add_u32 s12, s60, s12                                    // 000000004CA4: 800C0C3C
	s_addc_u32 s13, 0, s13                                     // 000000004CA8: 820D0D80
	v_mov_b32_e32 v196, 0                                      // 000000004CAC: 7F880280
	s_mov_b64 exec, s[94:95]                                   // 000000004CB0: BEFE015E
	buffer_load_dword v196, v1, s[12:15], 0 idxen              // 000000004CB4: E0502000 8003C401
	s_mov_b64 exec, s[92:93]                                   // 000000004CBC: BEFE015C
	v_mov_b32_e32 v197, 0                                      // 000000004CC0: 7F8A0280
	s_mov_b64 exec, s[94:95]                                   // 000000004CC4: BEFE015E
	buffer_load_dword v197, v2, s[12:15], 0 idxen              // 000000004CC8: E0502000 8003C502
	s_mov_b64 exec, s[92:93]                                   // 000000004CD0: BEFE015C
	v_mov_b32_e32 v198, 0                                      // 000000004CD4: 7F8C0280
	s_mov_b64 exec, s[94:95]                                   // 000000004CD8: BEFE015E
	buffer_load_dword v198, v3, s[12:15], 0 idxen              // 000000004CDC: E0502000 8003C603
	s_mov_b64 exec, s[92:93]                                   // 000000004CE4: BEFE015C
	v_mov_b32_e32 v199, 0                                      // 000000004CE8: 7F8E0280
	s_mov_b64 exec, s[94:95]                                   // 000000004CEC: BEFE015E
	buffer_load_dword v199, v4, s[12:15], 0 idxen              // 000000004CF0: E0502000 8003C704
	s_mov_b64 exec, s[92:93]                                   // 000000004CF8: BEFE015C
	s_mul_i32 s60, 16, s7                                      // 000000004CFC: 923C0790
	s_cmp_lt_i32 3, s72                                        // 000000004D00: BF044883
	s_cselect_b32 s60, s60, 0                                  // 000000004D04: 853C803C
	s_add_u32 s12, s60, s12                                    // 000000004D08: 800C0C3C
	s_addc_u32 s13, 0, s13                                     // 000000004D0C: 820D0D80
	s_waitcnt vmcnt(32) lgkmcnt(0)                             // 000000004D10: BF8C8070
	s_barrier                                                  // 000000004D14: BF8A0000
	s_cmp_lt_i32 0, s72                                        // 000000004D18: BF044880
	s_cbranch_scc1 label_03D8                                  // 000000004D1C: BF850010
	v_mov_b32_e32 v152, 0                                      // 000000004D20: 7F300280
	v_mov_b32_e32 v153, 0                                      // 000000004D24: 7F320280
	v_mov_b32_e32 v154, 0                                      // 000000004D28: 7F340280
	v_mov_b32_e32 v155, 0                                      // 000000004D2C: 7F360280
	v_mov_b32_e32 v156, 0                                      // 000000004D30: 7F380280
	v_mov_b32_e32 v157, 0                                      // 000000004D34: 7F3A0280
	v_mov_b32_e32 v158, 0                                      // 000000004D38: 7F3C0280
	v_mov_b32_e32 v159, 0                                      // 000000004D3C: 7F3E0280
	v_mov_b32_e32 v160, 0                                      // 000000004D40: 7F400280
	v_mov_b32_e32 v161, 0                                      // 000000004D44: 7F420280
	v_mov_b32_e32 v162, 0                                      // 000000004D48: 7F440280
	v_mov_b32_e32 v163, 0                                      // 000000004D4C: 7F460280
	v_mov_b32_e32 v164, 0                                      // 000000004D50: 7F480280
	v_mov_b32_e32 v165, 0                                      // 000000004D54: 7F4A0280
	v_mov_b32_e32 v166, 0                                      // 000000004D58: 7F4C0280
	v_mov_b32_e32 v167, 0                                      // 000000004D5C: 7F4E0280

0000000000004d60 <label_03D8>:
	v_perm_b32 v200, v153, v152, s63                           // 000000004D60: D1ED00C8 00FF3199
	v_perm_b32 v201, v153, v152, s64                           // 000000004D68: D1ED00C9 01033199
	v_perm_b32 v202, v155, v154, s63                           // 000000004D70: D1ED00CA 00FF359B
	v_perm_b32 v203, v155, v154, s64                           // 000000004D78: D1ED00CB 0103359B
	v_perm_b32 v204, v157, v156, s63                           // 000000004D80: D1ED00CC 00FF399D
	v_perm_b32 v205, v157, v156, s64                           // 000000004D88: D1ED00CD 0103399D
	v_perm_b32 v206, v159, v158, s63                           // 000000004D90: D1ED00CE 00FF3D9F
	v_perm_b32 v207, v159, v158, s64                           // 000000004D98: D1ED00CF 01033D9F
	v_perm_b32 v208, v161, v160, s63                           // 000000004DA0: D1ED00D0 00FF41A1
	v_perm_b32 v209, v161, v160, s64                           // 000000004DA8: D1ED00D1 010341A1
	v_perm_b32 v210, v163, v162, s63                           // 000000004DB0: D1ED00D2 00FF45A3
	v_perm_b32 v211, v163, v162, s64                           // 000000004DB8: D1ED00D3 010345A3
	v_perm_b32 v212, v165, v164, s63                           // 000000004DC0: D1ED00D4 00FF49A5
	v_perm_b32 v213, v165, v164, s64                           // 000000004DC8: D1ED00D5 010349A5
	v_perm_b32 v214, v167, v166, s63                           // 000000004DD0: D1ED00D6 00FF4DA7
	v_perm_b32 v215, v167, v166, s64                           // 000000004DD8: D1ED00D7 01034DA7
	ds_write_b32 v15, v200 offset:17408                        // 000000004DE0: D81A4400 0000C80F
	ds_write_b32 v15, v201 offset:18464                        // 000000004DE8: D81A4820 0000C90F
	ds_write_b32 v15, v202 offset:17536                        // 000000004DF0: D81A4480 0000CA0F
	ds_write_b32 v15, v203 offset:18592                        // 000000004DF8: D81A48A0 0000CB0F
	ds_write_b32 v15, v204 offset:21760                        // 000000004E00: D81A5500 0000CC0F
	ds_write_b32 v15, v205 offset:22816                        // 000000004E08: D81A5920 0000CD0F
	ds_write_b32 v15, v206 offset:21888                        // 000000004E10: D81A5580 0000CE0F
	ds_write_b32 v15, v207 offset:22944                        // 000000004E18: D81A59A0 0000CF0F
	ds_write_b32 v15, v208 offset:26112                        // 000000004E20: D81A6600 0000D00F
	ds_write_b32 v15, v209 offset:27168                        // 000000004E28: D81A6A20 0000D10F
	ds_write_b32 v15, v210 offset:26240                        // 000000004E30: D81A6680 0000D20F
	ds_write_b32 v15, v211 offset:27296                        // 000000004E38: D81A6AA0 0000D30F
	ds_write_b32 v15, v212 offset:30464                        // 000000004E40: D81A7700 0000D40F
	ds_write_b32 v15, v213 offset:31520                        // 000000004E48: D81A7B20 0000D50F
	ds_write_b32 v15, v214 offset:30592                        // 000000004E50: D81A7780 0000D60F
	ds_write_b32 v15, v215 offset:31648                        // 000000004E58: D81A7BA0 0000D70F
	ds_write_b32 v13, v152                                     // 000000004E60: D81A0000 0000980D
	ds_write_b32 v13, v153 offset:1056                         // 000000004E68: D81A0420 0000990D
	ds_write_b32 v13, v154 offset:128                          // 000000004E70: D81A0080 00009A0D
	ds_write_b32 v13, v155 offset:1184                         // 000000004E78: D81A04A0 00009B0D
	ds_write_b32 v13, v156 offset:4352                         // 000000004E80: D81A1100 00009C0D
	ds_write_b32 v13, v157 offset:5408                         // 000000004E88: D81A1520 00009D0D
	ds_write_b32 v13, v158 offset:4480                         // 000000004E90: D81A1180 00009E0D
	ds_write_b32 v13, v159 offset:5536                         // 000000004E98: D81A15A0 00009F0D
	ds_write_b32 v13, v160 offset:8704                         // 000000004EA0: D81A2200 0000A00D
	ds_write_b32 v13, v161 offset:9760                         // 000000004EA8: D81A2620 0000A10D
	ds_write_b32 v13, v162 offset:8832                         // 000000004EB0: D81A2280 0000A20D
	ds_write_b32 v13, v163 offset:9888                         // 000000004EB8: D81A26A0 0000A30D
	ds_write_b32 v13, v164 offset:13056                        // 000000004EC0: D81A3300 0000A40D
	ds_write_b32 v13, v165 offset:14112                        // 000000004EC8: D81A3720 0000A50D
	ds_write_b32 v13, v166 offset:13184                        // 000000004ED0: D81A3380 0000A60D
	ds_write_b32 v13, v167 offset:14240                        // 000000004ED8: D81A37A0 0000A70D
	v_mov_b32_e32 v152, 0                                      // 000000004EE0: 7F300280
	s_mov_b64 exec, s[94:95]                                   // 000000004EE4: BEFE015E
	buffer_load_dword v152, v1, s[16:19], 0 idxen              // 000000004EE8: E0502000 80049801
	s_mov_b64 exec, s[92:93]                                   // 000000004EF0: BEFE015C
	v_mov_b32_e32 v153, 0                                      // 000000004EF4: 7F320280
	s_mov_b64 exec, s[94:95]                                   // 000000004EF8: BEFE015E
	buffer_load_dword v153, v2, s[16:19], 0 idxen              // 000000004EFC: E0502000 80049902
	s_mov_b64 exec, s[92:93]                                   // 000000004F04: BEFE015C
	v_mov_b32_e32 v154, 0                                      // 000000004F08: 7F340280
	s_mov_b64 exec, s[94:95]                                   // 000000004F0C: BEFE015E
	buffer_load_dword v154, v3, s[16:19], 0 idxen              // 000000004F10: E0502000 80049A03
	s_mov_b64 exec, s[92:93]                                   // 000000004F18: BEFE015C
	v_mov_b32_e32 v155, 0                                      // 000000004F1C: 7F360280
	s_mov_b64 exec, s[94:95]                                   // 000000004F20: BEFE015E
	buffer_load_dword v155, v4, s[16:19], 0 idxen              // 000000004F24: E0502000 80049B04
	s_mov_b64 exec, s[92:93]                                   // 000000004F2C: BEFE015C
	s_mul_i32 s60, 16, s7                                      // 000000004F30: 923C0790
	s_cmp_lt_i32 0, s72                                        // 000000004F34: BF044880
	s_cselect_b32 s60, s60, 0                                  // 000000004F38: 853C803C
	s_add_u32 s16, s60, s16                                    // 000000004F3C: 8010103C
	s_addc_u32 s17, 0, s17                                     // 000000004F40: 82111180
	v_mov_b32_e32 v156, 0                                      // 000000004F44: 7F380280
	s_mov_b64 exec, s[94:95]                                   // 000000004F48: BEFE015E
	buffer_load_dword v156, v1, s[16:19], 0 idxen              // 000000004F4C: E0502000 80049C01
	s_mov_b64 exec, s[92:93]                                   // 000000004F54: BEFE015C
	v_mov_b32_e32 v157, 0                                      // 000000004F58: 7F3A0280
	s_mov_b64 exec, s[94:95]                                   // 000000004F5C: BEFE015E
	buffer_load_dword v157, v2, s[16:19], 0 idxen              // 000000004F60: E0502000 80049D02
	s_mov_b64 exec, s[92:93]                                   // 000000004F68: BEFE015C
	v_mov_b32_e32 v158, 0                                      // 000000004F6C: 7F3C0280
	s_mov_b64 exec, s[94:95]                                   // 000000004F70: BEFE015E
	buffer_load_dword v158, v3, s[16:19], 0 idxen              // 000000004F74: E0502000 80049E03
	s_mov_b64 exec, s[92:93]                                   // 000000004F7C: BEFE015C
	v_mov_b32_e32 v159, 0                                      // 000000004F80: 7F3E0280
	s_mov_b64 exec, s[94:95]                                   // 000000004F84: BEFE015E
	buffer_load_dword v159, v4, s[16:19], 0 idxen              // 000000004F88: E0502000 80049F04
	s_mov_b64 exec, s[92:93]                                   // 000000004F90: BEFE015C
	s_mul_i32 s60, 16, s7                                      // 000000004F94: 923C0790
	s_cmp_lt_i32 0, s72                                        // 000000004F98: BF044880
	s_cselect_b32 s60, s60, 0                                  // 000000004F9C: 853C803C
	s_add_u32 s16, s60, s16                                    // 000000004FA0: 8010103C
	s_addc_u32 s17, 0, s17                                     // 000000004FA4: 82111180
	v_mov_b32_e32 v160, 0                                      // 000000004FA8: 7F400280
	s_mov_b64 exec, s[94:95]                                   // 000000004FAC: BEFE015E
	buffer_load_dword v160, v1, s[16:19], 0 idxen              // 000000004FB0: E0502000 8004A001
	s_mov_b64 exec, s[92:93]                                   // 000000004FB8: BEFE015C
	v_mov_b32_e32 v161, 0                                      // 000000004FBC: 7F420280
	s_mov_b64 exec, s[94:95]                                   // 000000004FC0: BEFE015E
	buffer_load_dword v161, v2, s[16:19], 0 idxen              // 000000004FC4: E0502000 8004A102
	s_mov_b64 exec, s[92:93]                                   // 000000004FCC: BEFE015C
	v_mov_b32_e32 v162, 0                                      // 000000004FD0: 7F440280
	s_mov_b64 exec, s[94:95]                                   // 000000004FD4: BEFE015E
	buffer_load_dword v162, v3, s[16:19], 0 idxen              // 000000004FD8: E0502000 8004A203
	s_mov_b64 exec, s[92:93]                                   // 000000004FE0: BEFE015C
	v_mov_b32_e32 v163, 0                                      // 000000004FE4: 7F460280
	s_mov_b64 exec, s[94:95]                                   // 000000004FE8: BEFE015E
	buffer_load_dword v163, v4, s[16:19], 0 idxen              // 000000004FEC: E0502000 8004A304
	s_mov_b64 exec, s[92:93]                                   // 000000004FF4: BEFE015C
	s_mul_i32 s60, 16, s7                                      // 000000004FF8: 923C0790
	s_cmp_lt_i32 0, s72                                        // 000000004FFC: BF044880
	s_cselect_b32 s60, s60, 0                                  // 000000005000: 853C803C
	s_add_u32 s16, s60, s16                                    // 000000005004: 8010103C
	s_addc_u32 s17, 0, s17                                     // 000000005008: 82111180
	v_mov_b32_e32 v164, 0                                      // 00000000500C: 7F480280
	s_mov_b64 exec, s[94:95]                                   // 000000005010: BEFE015E
	buffer_load_dword v164, v1, s[16:19], 0 idxen              // 000000005014: E0502000 8004A401
	s_mov_b64 exec, s[92:93]                                   // 00000000501C: BEFE015C
	v_mov_b32_e32 v165, 0                                      // 000000005020: 7F4A0280
	s_mov_b64 exec, s[94:95]                                   // 000000005024: BEFE015E
	buffer_load_dword v165, v2, s[16:19], 0 idxen              // 000000005028: E0502000 8004A502
	s_mov_b64 exec, s[92:93]                                   // 000000005030: BEFE015C
	v_mov_b32_e32 v166, 0                                      // 000000005034: 7F4C0280
	s_mov_b64 exec, s[94:95]                                   // 000000005038: BEFE015E
	buffer_load_dword v166, v3, s[16:19], 0 idxen              // 00000000503C: E0502000 8004A603
	s_mov_b64 exec, s[92:93]                                   // 000000005044: BEFE015C
	v_mov_b32_e32 v167, 0                                      // 000000005048: 7F4E0280
	s_mov_b64 exec, s[94:95]                                   // 00000000504C: BEFE015E
	buffer_load_dword v167, v4, s[16:19], 0 idxen              // 000000005050: E0502000 8004A704
	s_mov_b64 exec, s[92:93]                                   // 000000005058: BEFE015C
	s_mul_i32 s60, 16, s7                                      // 00000000505C: 923C0790
	s_cmp_lt_i32 1, s72                                        // 000000005060: BF044881
	s_cselect_b32 s60, s60, 0                                  // 000000005064: 853C803C
	s_add_u32 s16, s60, s16                                    // 000000005068: 8010103C
	s_addc_u32 s17, 0, s17                                     // 00000000506C: 82111180
	s_waitcnt lgkmcnt(0)                                       // 000000005070: BF8CC07F
	s_barrier                                                  // 000000005074: BF8A0000
	ds_read_b128 a[48:51], v25 offset:17408                    // 000000005078: DBFE4400 30000019
	ds_read_b128 a[52:55], v25 offset:17664                    // 000000005080: DBFE4500 34000019
	ds_read_b128 a[56:59], v25 offset:26112                    // 000000005088: DBFE6600 38000019
	ds_read_b128 a[60:63], v25 offset:26368                    // 000000005090: DBFE6700 3C000019
	ds_read_b128 a[0:3], v24                                   // 000000005098: DBFE0000 00000018
	ds_read_b128 a[4:7], v24 offset:512                        // 0000000050A0: DBFE0200 04000018
	ds_read_b128 a[8:11], v24 offset:2176                      // 0000000050A8: DBFE0880 08000018
	ds_read_b128 a[12:15], v24 offset:2688                     // 0000000050B0: DBFE0A80 0C000018
	s_waitcnt vmcnt(32) lgkmcnt(0)                             // 0000000050B8: BF8C8070
	s_barrier                                                  // 0000000050BC: BF8A0000
	s_cmp_lt_i32 1, s72                                        // 0000000050C0: BF044881
	s_cbranch_scc1 label_04C2                                  // 0000000050C4: BF850010
	v_mov_b32_e32 v168, 0                                      // 0000000050C8: 7F500280
	v_mov_b32_e32 v169, 0                                      // 0000000050CC: 7F520280
	v_mov_b32_e32 v170, 0                                      // 0000000050D0: 7F540280
	v_mov_b32_e32 v171, 0                                      // 0000000050D4: 7F560280
	v_mov_b32_e32 v172, 0                                      // 0000000050D8: 7F580280
	v_mov_b32_e32 v173, 0                                      // 0000000050DC: 7F5A0280
	v_mov_b32_e32 v174, 0                                      // 0000000050E0: 7F5C0280
	v_mov_b32_e32 v175, 0                                      // 0000000050E4: 7F5E0280
	v_mov_b32_e32 v176, 0                                      // 0000000050E8: 7F600280
	v_mov_b32_e32 v177, 0                                      // 0000000050EC: 7F620280
	v_mov_b32_e32 v178, 0                                      // 0000000050F0: 7F640280
	v_mov_b32_e32 v179, 0                                      // 0000000050F4: 7F660280
	v_mov_b32_e32 v180, 0                                      // 0000000050F8: 7F680280
	v_mov_b32_e32 v181, 0                                      // 0000000050FC: 7F6A0280
	v_mov_b32_e32 v182, 0                                      // 000000005100: 7F6C0280
	v_mov_b32_e32 v183, 0                                      // 000000005104: 7F6E0280

0000000000005108 <label_04C2>:
	v_perm_b32 v200, v169, v168, s63                           // 000000005108: D1ED00C8 00FF51A9
	v_perm_b32 v201, v169, v168, s64                           // 000000005110: D1ED00C9 010351A9
	v_perm_b32 v202, v171, v170, s63                           // 000000005118: D1ED00CA 00FF55AB
	v_perm_b32 v203, v171, v170, s64                           // 000000005120: D1ED00CB 010355AB
	v_perm_b32 v204, v173, v172, s63                           // 000000005128: D1ED00CC 00FF59AD
	v_perm_b32 v205, v173, v172, s64                           // 000000005130: D1ED00CD 010359AD
	v_perm_b32 v206, v175, v174, s63                           // 000000005138: D1ED00CE 00FF5DAF
	v_perm_b32 v207, v175, v174, s64                           // 000000005140: D1ED00CF 01035DAF
	v_perm_b32 v208, v177, v176, s63                           // 000000005148: D1ED00D0 00FF61B1
	v_perm_b32 v209, v177, v176, s64                           // 000000005150: D1ED00D1 010361B1
	v_perm_b32 v210, v179, v178, s63                           // 000000005158: D1ED00D2 00FF65B3
	v_perm_b32 v211, v179, v178, s64                           // 000000005160: D1ED00D3 010365B3
	v_perm_b32 v212, v181, v180, s63                           // 000000005168: D1ED00D4 00FF69B5
	v_perm_b32 v213, v181, v180, s64                           // 000000005170: D1ED00D5 010369B5
	v_perm_b32 v214, v183, v182, s63                           // 000000005178: D1ED00D6 00FF6DB7
	v_perm_b32 v215, v183, v182, s64                           // 000000005180: D1ED00D7 01036DB7
	ds_write_b32 v15, v200 offset:17408                        // 000000005188: D81A4400 0000C80F
	ds_write_b32 v15, v201 offset:18464                        // 000000005190: D81A4820 0000C90F
	ds_write_b32 v15, v202 offset:17536                        // 000000005198: D81A4480 0000CA0F
	ds_write_b32 v15, v203 offset:18592                        // 0000000051A0: D81A48A0 0000CB0F
	ds_write_b32 v15, v204 offset:21760                        // 0000000051A8: D81A5500 0000CC0F
	ds_write_b32 v15, v205 offset:22816                        // 0000000051B0: D81A5920 0000CD0F
	ds_write_b32 v15, v206 offset:21888                        // 0000000051B8: D81A5580 0000CE0F
	ds_write_b32 v15, v207 offset:22944                        // 0000000051C0: D81A59A0 0000CF0F
	ds_write_b32 v15, v208 offset:26112                        // 0000000051C8: D81A6600 0000D00F
	ds_write_b32 v15, v209 offset:27168                        // 0000000051D0: D81A6A20 0000D10F
	ds_write_b32 v15, v210 offset:26240                        // 0000000051D8: D81A6680 0000D20F
	ds_write_b32 v15, v211 offset:27296                        // 0000000051E0: D81A6AA0 0000D30F
	ds_write_b32 v15, v212 offset:30464                        // 0000000051E8: D81A7700 0000D40F
	ds_write_b32 v15, v213 offset:31520                        // 0000000051F0: D81A7B20 0000D50F
	ds_write_b32 v15, v214 offset:30592                        // 0000000051F8: D81A7780 0000D60F
	ds_write_b32 v15, v215 offset:31648                        // 000000005200: D81A7BA0 0000D70F
	ds_write_b32 v13, v168                                     // 000000005208: D81A0000 0000A80D
	ds_write_b32 v13, v169 offset:1056                         // 000000005210: D81A0420 0000A90D
	ds_write_b32 v13, v170 offset:128                          // 000000005218: D81A0080 0000AA0D
	ds_write_b32 v13, v171 offset:1184                         // 000000005220: D81A04A0 0000AB0D
	ds_write_b32 v13, v172 offset:4352                         // 000000005228: D81A1100 0000AC0D
	ds_write_b32 v13, v173 offset:5408                         // 000000005230: D81A1520 0000AD0D
	ds_write_b32 v13, v174 offset:4480                         // 000000005238: D81A1180 0000AE0D
	ds_write_b32 v13, v175 offset:5536                         // 000000005240: D81A15A0 0000AF0D
	ds_write_b32 v13, v176 offset:8704                         // 000000005248: D81A2200 0000B00D
	ds_write_b32 v13, v177 offset:9760                         // 000000005250: D81A2620 0000B10D
	ds_write_b32 v13, v178 offset:8832                         // 000000005258: D81A2280 0000B20D
	ds_write_b32 v13, v179 offset:9888                         // 000000005260: D81A26A0 0000B30D
	ds_write_b32 v13, v180 offset:13056                        // 000000005268: D81A3300 0000B40D
	ds_write_b32 v13, v181 offset:14112                        // 000000005270: D81A3720 0000B50D
	ds_write_b32 v13, v182 offset:13184                        // 000000005278: D81A3380 0000B60D
	ds_write_b32 v13, v183 offset:14240                        // 000000005280: D81A37A0 0000B70D
	v_mov_b32_e32 v168, 0                                      // 000000005288: 7F500280
	s_mov_b64 exec, s[94:95]                                   // 00000000528C: BEFE015E
	buffer_load_dword v168, v1, s[16:19], 0 idxen              // 000000005290: E0502000 8004A801
	s_mov_b64 exec, s[92:93]                                   // 000000005298: BEFE015C
	v_mov_b32_e32 v169, 0                                      // 00000000529C: 7F520280
	s_mov_b64 exec, s[94:95]                                   // 0000000052A0: BEFE015E
	buffer_load_dword v169, v2, s[16:19], 0 idxen              // 0000000052A4: E0502000 8004A902
	s_mov_b64 exec, s[92:93]                                   // 0000000052AC: BEFE015C
	v_mov_b32_e32 v170, 0                                      // 0000000052B0: 7F540280
	s_mov_b64 exec, s[94:95]                                   // 0000000052B4: BEFE015E
	buffer_load_dword v170, v3, s[16:19], 0 idxen              // 0000000052B8: E0502000 8004AA03
	s_mov_b64 exec, s[92:93]                                   // 0000000052C0: BEFE015C
	v_mov_b32_e32 v171, 0                                      // 0000000052C4: 7F560280
	s_mov_b64 exec, s[94:95]                                   // 0000000052C8: BEFE015E
	buffer_load_dword v171, v4, s[16:19], 0 idxen              // 0000000052CC: E0502000 8004AB04
	s_mov_b64 exec, s[92:93]                                   // 0000000052D4: BEFE015C
	s_mul_i32 s60, 16, s7                                      // 0000000052D8: 923C0790
	s_cmp_lt_i32 1, s72                                        // 0000000052DC: BF044881
	s_cselect_b32 s60, s60, 0                                  // 0000000052E0: 853C803C
	s_add_u32 s16, s60, s16                                    // 0000000052E4: 8010103C
	s_addc_u32 s17, 0, s17                                     // 0000000052E8: 82111180
	v_mov_b32_e32 v172, 0                                      // 0000000052EC: 7F580280
	s_mov_b64 exec, s[94:95]                                   // 0000000052F0: BEFE015E
	buffer_load_dword v172, v1, s[16:19], 0 idxen              // 0000000052F4: E0502000 8004AC01
	s_mov_b64 exec, s[92:93]                                   // 0000000052FC: BEFE015C
	v_mov_b32_e32 v173, 0                                      // 000000005300: 7F5A0280
	s_mov_b64 exec, s[94:95]                                   // 000000005304: BEFE015E
	buffer_load_dword v173, v2, s[16:19], 0 idxen              // 000000005308: E0502000 8004AD02
	s_mov_b64 exec, s[92:93]                                   // 000000005310: BEFE015C
	v_mov_b32_e32 v174, 0                                      // 000000005314: 7F5C0280
	s_mov_b64 exec, s[94:95]                                   // 000000005318: BEFE015E
	buffer_load_dword v174, v3, s[16:19], 0 idxen              // 00000000531C: E0502000 8004AE03
	s_mov_b64 exec, s[92:93]                                   // 000000005324: BEFE015C
	v_mov_b32_e32 v175, 0                                      // 000000005328: 7F5E0280
	s_mov_b64 exec, s[94:95]                                   // 00000000532C: BEFE015E
	buffer_load_dword v175, v4, s[16:19], 0 idxen              // 000000005330: E0502000 8004AF04
	s_mov_b64 exec, s[92:93]                                   // 000000005338: BEFE015C
	s_mul_i32 s60, 16, s7                                      // 00000000533C: 923C0790
	s_cmp_lt_i32 1, s72                                        // 000000005340: BF044881
	s_cselect_b32 s60, s60, 0                                  // 000000005344: 853C803C
	s_add_u32 s16, s60, s16                                    // 000000005348: 8010103C
	s_addc_u32 s17, 0, s17                                     // 00000000534C: 82111180
	v_mov_b32_e32 v176, 0                                      // 000000005350: 7F600280
	s_mov_b64 exec, s[94:95]                                   // 000000005354: BEFE015E
	buffer_load_dword v176, v1, s[16:19], 0 idxen              // 000000005358: E0502000 8004B001
	s_mov_b64 exec, s[92:93]                                   // 000000005360: BEFE015C
	v_mov_b32_e32 v177, 0                                      // 000000005364: 7F620280
	s_mov_b64 exec, s[94:95]                                   // 000000005368: BEFE015E
	buffer_load_dword v177, v2, s[16:19], 0 idxen              // 00000000536C: E0502000 8004B102
	s_mov_b64 exec, s[92:93]                                   // 000000005374: BEFE015C
	v_mov_b32_e32 v178, 0                                      // 000000005378: 7F640280
	s_mov_b64 exec, s[94:95]                                   // 00000000537C: BEFE015E
	buffer_load_dword v178, v3, s[16:19], 0 idxen              // 000000005380: E0502000 8004B203
	s_mov_b64 exec, s[92:93]                                   // 000000005388: BEFE015C
	v_mov_b32_e32 v179, 0                                      // 00000000538C: 7F660280
	s_mov_b64 exec, s[94:95]                                   // 000000005390: BEFE015E
	buffer_load_dword v179, v4, s[16:19], 0 idxen              // 000000005394: E0502000 8004B304
	s_mov_b64 exec, s[92:93]                                   // 00000000539C: BEFE015C
	s_mul_i32 s60, 16, s7                                      // 0000000053A0: 923C0790
	s_cmp_lt_i32 1, s72                                        // 0000000053A4: BF044881
	s_cselect_b32 s60, s60, 0                                  // 0000000053A8: 853C803C
	s_add_u32 s16, s60, s16                                    // 0000000053AC: 8010103C
	s_addc_u32 s17, 0, s17                                     // 0000000053B0: 82111180
	v_mov_b32_e32 v180, 0                                      // 0000000053B4: 7F680280
	s_mov_b64 exec, s[94:95]                                   // 0000000053B8: BEFE015E
	buffer_load_dword v180, v1, s[16:19], 0 idxen              // 0000000053BC: E0502000 8004B401
	s_mov_b64 exec, s[92:93]                                   // 0000000053C4: BEFE015C
	v_mov_b32_e32 v181, 0                                      // 0000000053C8: 7F6A0280
	s_mov_b64 exec, s[94:95]                                   // 0000000053CC: BEFE015E
	buffer_load_dword v181, v2, s[16:19], 0 idxen              // 0000000053D0: E0502000 8004B502
	s_mov_b64 exec, s[92:93]                                   // 0000000053D8: BEFE015C
	v_mov_b32_e32 v182, 0                                      // 0000000053DC: 7F6C0280
	s_mov_b64 exec, s[94:95]                                   // 0000000053E0: BEFE015E
	buffer_load_dword v182, v3, s[16:19], 0 idxen              // 0000000053E4: E0502000 8004B603
	s_mov_b64 exec, s[92:93]                                   // 0000000053EC: BEFE015C
	v_mov_b32_e32 v183, 0                                      // 0000000053F0: 7F6E0280
	s_mov_b64 exec, s[94:95]                                   // 0000000053F4: BEFE015E
	buffer_load_dword v183, v4, s[16:19], 0 idxen              // 0000000053F8: E0502000 8004B704
	s_mov_b64 exec, s[92:93]                                   // 000000005400: BEFE015C
	s_mul_i32 s60, 16, s7                                      // 000000005404: 923C0790
	s_cmp_lt_i32 2, s72                                        // 000000005408: BF044882
	s_cselect_b32 s60, s60, 0                                  // 00000000540C: 853C803C
	s_add_u32 s16, s60, s16                                    // 000000005410: 8010103C
	s_addc_u32 s17, 0, s17                                     // 000000005414: 82111180
	s_waitcnt lgkmcnt(0)                                       // 000000005418: BF8CC07F
	s_barrier                                                  // 00000000541C: BF8A0000
	ds_read_b128 a[64:67], v25 offset:17408                    // 000000005420: DBFE4400 40000019
	ds_read_b128 a[68:71], v25 offset:17664                    // 000000005428: DBFE4500 44000019
	ds_read_b128 a[72:75], v25 offset:26112                    // 000000005430: DBFE6600 48000019
	ds_read_b128 a[76:79], v25 offset:26368                    // 000000005438: DBFE6700 4C000019
	ds_read_b128 a[16:19], v24                                 // 000000005440: DBFE0000 10000018
	ds_read_b128 a[20:23], v24 offset:512                      // 000000005448: DBFE0200 14000018
	ds_read_b128 a[24:27], v24 offset:2176                     // 000000005450: DBFE0880 18000018
	ds_read_b128 a[28:31], v24 offset:2688                     // 000000005458: DBFE0A80 1C000018
	s_waitcnt vmcnt(32) lgkmcnt(0)                             // 000000005460: BF8C8070
	s_barrier                                                  // 000000005464: BF8A0000
	s_cmp_lt_i32 2, s72                                        // 000000005468: BF044882
	s_cbranch_scc1 label_05AC                                  // 00000000546C: BF850010
	v_mov_b32_e32 v184, 0                                      // 000000005470: 7F700280
	v_mov_b32_e32 v185, 0                                      // 000000005474: 7F720280
	v_mov_b32_e32 v186, 0                                      // 000000005478: 7F740280
	v_mov_b32_e32 v187, 0                                      // 00000000547C: 7F760280
	v_mov_b32_e32 v188, 0                                      // 000000005480: 7F780280
	v_mov_b32_e32 v189, 0                                      // 000000005484: 7F7A0280
	v_mov_b32_e32 v190, 0                                      // 000000005488: 7F7C0280
	v_mov_b32_e32 v191, 0                                      // 00000000548C: 7F7E0280
	v_mov_b32_e32 v192, 0                                      // 000000005490: 7F800280
	v_mov_b32_e32 v193, 0                                      // 000000005494: 7F820280
	v_mov_b32_e32 v194, 0                                      // 000000005498: 7F840280
	v_mov_b32_e32 v195, 0                                      // 00000000549C: 7F860280
	v_mov_b32_e32 v196, 0                                      // 0000000054A0: 7F880280
	v_mov_b32_e32 v197, 0                                      // 0000000054A4: 7F8A0280
	v_mov_b32_e32 v198, 0                                      // 0000000054A8: 7F8C0280
	v_mov_b32_e32 v199, 0                                      // 0000000054AC: 7F8E0280

00000000000054b0 <label_05AC>:
	v_perm_b32 v200, v185, v184, s63                           // 0000000054B0: D1ED00C8 00FF71B9
	v_perm_b32 v201, v185, v184, s64                           // 0000000054B8: D1ED00C9 010371B9
	v_perm_b32 v202, v187, v186, s63                           // 0000000054C0: D1ED00CA 00FF75BB
	v_perm_b32 v203, v187, v186, s64                           // 0000000054C8: D1ED00CB 010375BB
	v_perm_b32 v204, v189, v188, s63                           // 0000000054D0: D1ED00CC 00FF79BD
	v_perm_b32 v205, v189, v188, s64                           // 0000000054D8: D1ED00CD 010379BD
	v_perm_b32 v206, v191, v190, s63                           // 0000000054E0: D1ED00CE 00FF7DBF
	v_perm_b32 v207, v191, v190, s64                           // 0000000054E8: D1ED00CF 01037DBF
	v_perm_b32 v208, v193, v192, s63                           // 0000000054F0: D1ED00D0 00FF81C1
	v_perm_b32 v209, v193, v192, s64                           // 0000000054F8: D1ED00D1 010381C1
	v_perm_b32 v210, v195, v194, s63                           // 000000005500: D1ED00D2 00FF85C3
	v_perm_b32 v211, v195, v194, s64                           // 000000005508: D1ED00D3 010385C3
	v_perm_b32 v212, v197, v196, s63                           // 000000005510: D1ED00D4 00FF89C5
	v_perm_b32 v213, v197, v196, s64                           // 000000005518: D1ED00D5 010389C5
	v_perm_b32 v214, v199, v198, s63                           // 000000005520: D1ED00D6 00FF8DC7
	v_perm_b32 v215, v199, v198, s64                           // 000000005528: D1ED00D7 01038DC7
	ds_write_b32 v15, v200 offset:17408                        // 000000005530: D81A4400 0000C80F
	ds_write_b32 v15, v201 offset:18464                        // 000000005538: D81A4820 0000C90F
	ds_write_b32 v15, v202 offset:17536                        // 000000005540: D81A4480 0000CA0F
	ds_write_b32 v15, v203 offset:18592                        // 000000005548: D81A48A0 0000CB0F
	ds_write_b32 v15, v204 offset:21760                        // 000000005550: D81A5500 0000CC0F
	ds_write_b32 v15, v205 offset:22816                        // 000000005558: D81A5920 0000CD0F
	ds_write_b32 v15, v206 offset:21888                        // 000000005560: D81A5580 0000CE0F
	ds_write_b32 v15, v207 offset:22944                        // 000000005568: D81A59A0 0000CF0F
	ds_write_b32 v15, v208 offset:26112                        // 000000005570: D81A6600 0000D00F
	ds_write_b32 v15, v209 offset:27168                        // 000000005578: D81A6A20 0000D10F
	ds_write_b32 v15, v210 offset:26240                        // 000000005580: D81A6680 0000D20F
	ds_write_b32 v15, v211 offset:27296                        // 000000005588: D81A6AA0 0000D30F
	ds_write_b32 v15, v212 offset:30464                        // 000000005590: D81A7700 0000D40F
	ds_write_b32 v15, v213 offset:31520                        // 000000005598: D81A7B20 0000D50F
	ds_write_b32 v15, v214 offset:30592                        // 0000000055A0: D81A7780 0000D60F
	ds_write_b32 v15, v215 offset:31648                        // 0000000055A8: D81A7BA0 0000D70F
	ds_write_b32 v13, v184                                     // 0000000055B0: D81A0000 0000B80D
	ds_write_b32 v13, v185 offset:1056                         // 0000000055B8: D81A0420 0000B90D
	ds_write_b32 v13, v186 offset:128                          // 0000000055C0: D81A0080 0000BA0D
	ds_write_b32 v13, v187 offset:1184                         // 0000000055C8: D81A04A0 0000BB0D
	ds_write_b32 v13, v188 offset:4352                         // 0000000055D0: D81A1100 0000BC0D
	ds_write_b32 v13, v189 offset:5408                         // 0000000055D8: D81A1520 0000BD0D
	ds_write_b32 v13, v190 offset:4480                         // 0000000055E0: D81A1180 0000BE0D
	ds_write_b32 v13, v191 offset:5536                         // 0000000055E8: D81A15A0 0000BF0D
	ds_write_b32 v13, v192 offset:8704                         // 0000000055F0: D81A2200 0000C00D
	ds_write_b32 v13, v193 offset:9760                         // 0000000055F8: D81A2620 0000C10D
	ds_write_b32 v13, v194 offset:8832                         // 000000005600: D81A2280 0000C20D
	ds_write_b32 v13, v195 offset:9888                         // 000000005608: D81A26A0 0000C30D
	ds_write_b32 v13, v196 offset:13056                        // 000000005610: D81A3300 0000C40D
	ds_write_b32 v13, v197 offset:14112                        // 000000005618: D81A3720 0000C50D
	ds_write_b32 v13, v198 offset:13184                        // 000000005620: D81A3380 0000C60D
	ds_write_b32 v13, v199 offset:14240                        // 000000005628: D81A37A0 0000C70D
	v_mov_b32_e32 v184, 0                                      // 000000005630: 7F700280
	s_mov_b64 exec, s[94:95]                                   // 000000005634: BEFE015E
	buffer_load_dword v184, v1, s[16:19], 0 idxen              // 000000005638: E0502000 8004B801
	s_mov_b64 exec, s[92:93]                                   // 000000005640: BEFE015C
	v_mov_b32_e32 v185, 0                                      // 000000005644: 7F720280
	s_mov_b64 exec, s[94:95]                                   // 000000005648: BEFE015E
	buffer_load_dword v185, v2, s[16:19], 0 idxen              // 00000000564C: E0502000 8004B902
	s_mov_b64 exec, s[92:93]                                   // 000000005654: BEFE015C
	v_mov_b32_e32 v186, 0                                      // 000000005658: 7F740280
	s_mov_b64 exec, s[94:95]                                   // 00000000565C: BEFE015E
	buffer_load_dword v186, v3, s[16:19], 0 idxen              // 000000005660: E0502000 8004BA03
	s_mov_b64 exec, s[92:93]                                   // 000000005668: BEFE015C
	v_mov_b32_e32 v187, 0                                      // 00000000566C: 7F760280
	s_mov_b64 exec, s[94:95]                                   // 000000005670: BEFE015E
	buffer_load_dword v187, v4, s[16:19], 0 idxen              // 000000005674: E0502000 8004BB04
	s_mov_b64 exec, s[92:93]                                   // 00000000567C: BEFE015C
	s_mul_i32 s60, 16, s7                                      // 000000005680: 923C0790
	s_cmp_lt_i32 2, s72                                        // 000000005684: BF044882
	s_cselect_b32 s60, s60, 0                                  // 000000005688: 853C803C
	s_add_u32 s16, s60, s16                                    // 00000000568C: 8010103C
	s_addc_u32 s17, 0, s17                                     // 000000005690: 82111180
	v_mov_b32_e32 v188, 0                                      // 000000005694: 7F780280
	s_mov_b64 exec, s[94:95]                                   // 000000005698: BEFE015E
	buffer_load_dword v188, v1, s[16:19], 0 idxen              // 00000000569C: E0502000 8004BC01
	s_mov_b64 exec, s[92:93]                                   // 0000000056A4: BEFE015C
	v_mov_b32_e32 v189, 0                                      // 0000000056A8: 7F7A0280
	s_mov_b64 exec, s[94:95]                                   // 0000000056AC: BEFE015E
	buffer_load_dword v189, v2, s[16:19], 0 idxen              // 0000000056B0: E0502000 8004BD02
	s_mov_b64 exec, s[92:93]                                   // 0000000056B8: BEFE015C
	v_mov_b32_e32 v190, 0                                      // 0000000056BC: 7F7C0280
	s_mov_b64 exec, s[94:95]                                   // 0000000056C0: BEFE015E
	buffer_load_dword v190, v3, s[16:19], 0 idxen              // 0000000056C4: E0502000 8004BE03
	s_mov_b64 exec, s[92:93]                                   // 0000000056CC: BEFE015C
	v_mov_b32_e32 v191, 0                                      // 0000000056D0: 7F7E0280
	s_mov_b64 exec, s[94:95]                                   // 0000000056D4: BEFE015E
	buffer_load_dword v191, v4, s[16:19], 0 idxen              // 0000000056D8: E0502000 8004BF04
	s_mov_b64 exec, s[92:93]                                   // 0000000056E0: BEFE015C
	s_mul_i32 s60, 16, s7                                      // 0000000056E4: 923C0790
	s_cmp_lt_i32 2, s72                                        // 0000000056E8: BF044882
	s_cselect_b32 s60, s60, 0                                  // 0000000056EC: 853C803C
	s_add_u32 s16, s60, s16                                    // 0000000056F0: 8010103C
	s_addc_u32 s17, 0, s17                                     // 0000000056F4: 82111180
	v_mov_b32_e32 v192, 0                                      // 0000000056F8: 7F800280
	s_mov_b64 exec, s[94:95]                                   // 0000000056FC: BEFE015E
	buffer_load_dword v192, v1, s[16:19], 0 idxen              // 000000005700: E0502000 8004C001
	s_mov_b64 exec, s[92:93]                                   // 000000005708: BEFE015C
	v_mov_b32_e32 v193, 0                                      // 00000000570C: 7F820280
	s_mov_b64 exec, s[94:95]                                   // 000000005710: BEFE015E
	buffer_load_dword v193, v2, s[16:19], 0 idxen              // 000000005714: E0502000 8004C102
	s_mov_b64 exec, s[92:93]                                   // 00000000571C: BEFE015C
	v_mov_b32_e32 v194, 0                                      // 000000005720: 7F840280
	s_mov_b64 exec, s[94:95]                                   // 000000005724: BEFE015E
	buffer_load_dword v194, v3, s[16:19], 0 idxen              // 000000005728: E0502000 8004C203
	s_mov_b64 exec, s[92:93]                                   // 000000005730: BEFE015C
	v_mov_b32_e32 v195, 0                                      // 000000005734: 7F860280
	s_mov_b64 exec, s[94:95]                                   // 000000005738: BEFE015E
	buffer_load_dword v195, v4, s[16:19], 0 idxen              // 00000000573C: E0502000 8004C304
	s_mov_b64 exec, s[92:93]                                   // 000000005744: BEFE015C
	s_mul_i32 s60, 16, s7                                      // 000000005748: 923C0790
	s_cmp_lt_i32 2, s72                                        // 00000000574C: BF044882
	s_cselect_b32 s60, s60, 0                                  // 000000005750: 853C803C
	s_add_u32 s16, s60, s16                                    // 000000005754: 8010103C
	s_addc_u32 s17, 0, s17                                     // 000000005758: 82111180
	v_mov_b32_e32 v196, 0                                      // 00000000575C: 7F880280
	s_mov_b64 exec, s[94:95]                                   // 000000005760: BEFE015E
	buffer_load_dword v196, v1, s[16:19], 0 idxen              // 000000005764: E0502000 8004C401
	s_mov_b64 exec, s[92:93]                                   // 00000000576C: BEFE015C
	v_mov_b32_e32 v197, 0                                      // 000000005770: 7F8A0280
	s_mov_b64 exec, s[94:95]                                   // 000000005774: BEFE015E
	buffer_load_dword v197, v2, s[16:19], 0 idxen              // 000000005778: E0502000 8004C502
	s_mov_b64 exec, s[92:93]                                   // 000000005780: BEFE015C
	v_mov_b32_e32 v198, 0                                      // 000000005784: 7F8C0280
	s_mov_b64 exec, s[94:95]                                   // 000000005788: BEFE015E
	buffer_load_dword v198, v3, s[16:19], 0 idxen              // 00000000578C: E0502000 8004C603
	s_mov_b64 exec, s[92:93]                                   // 000000005794: BEFE015C
	v_mov_b32_e32 v199, 0                                      // 000000005798: 7F8E0280
	s_mov_b64 exec, s[94:95]                                   // 00000000579C: BEFE015E
	buffer_load_dword v199, v4, s[16:19], 0 idxen              // 0000000057A0: E0502000 8004C704
	s_mov_b64 exec, s[92:93]                                   // 0000000057A8: BEFE015C
	s_mul_i32 s60, 16, s7                                      // 0000000057AC: 923C0790
	s_cmp_lt_i32 3, s72                                        // 0000000057B0: BF044883
	s_cselect_b32 s60, s60, 0                                  // 0000000057B4: 853C803C
	s_add_u32 s16, s60, s16                                    // 0000000057B8: 8010103C
	s_addc_u32 s17, 0, s17                                     // 0000000057BC: 82111180
	s_waitcnt lgkmcnt(0)                                       // 0000000057C0: BF8CC07F
	s_barrier                                                  // 0000000057C4: BF8A0000
	ds_read_b128 a[80:83], v25 offset:17408                    // 0000000057C8: DBFE4400 50000019
	ds_read_b128 a[84:87], v25 offset:17664                    // 0000000057D0: DBFE4500 54000019
	ds_read_b128 a[88:91], v25 offset:26112                    // 0000000057D8: DBFE6600 58000019
	ds_read_b128 a[92:95], v25 offset:26368                    // 0000000057E0: DBFE6700 5C000019
	ds_read_b128 a[32:35], v24                                 // 0000000057E8: DBFE0000 20000018
	ds_read_b128 a[36:39], v24 offset:512                      // 0000000057F0: DBFE0200 24000018
	ds_read_b128 a[40:43], v24 offset:2176                     // 0000000057F8: DBFE0880 28000018
	ds_read_b128 a[44:47], v24 offset:2688                     // 000000005800: DBFE0A80 2C000018
	s_waitcnt vmcnt(32) lgkmcnt(0)                             // 000000005808: BF8C8070
	s_barrier                                                  // 00000000580C: BF8A0000
	s_cmp_lt_i32 0, s72                                        // 000000005810: BF044880
	s_cbranch_scc1 label_0696                                  // 000000005814: BF850010
	v_mov_b32_e32 v152, 0                                      // 000000005818: 7F300280
	v_mov_b32_e32 v153, 0                                      // 00000000581C: 7F320280
	v_mov_b32_e32 v154, 0                                      // 000000005820: 7F340280
	v_mov_b32_e32 v155, 0                                      // 000000005824: 7F360280
	v_mov_b32_e32 v156, 0                                      // 000000005828: 7F380280
	v_mov_b32_e32 v157, 0                                      // 00000000582C: 7F3A0280
	v_mov_b32_e32 v158, 0                                      // 000000005830: 7F3C0280
	v_mov_b32_e32 v159, 0                                      // 000000005834: 7F3E0280
	v_mov_b32_e32 v160, 0                                      // 000000005838: 7F400280
	v_mov_b32_e32 v161, 0                                      // 00000000583C: 7F420280
	v_mov_b32_e32 v162, 0                                      // 000000005840: 7F440280
	v_mov_b32_e32 v163, 0                                      // 000000005844: 7F460280
	v_mov_b32_e32 v164, 0                                      // 000000005848: 7F480280
	v_mov_b32_e32 v165, 0                                      // 00000000584C: 7F4A0280
	v_mov_b32_e32 v166, 0                                      // 000000005850: 7F4C0280
	v_mov_b32_e32 v167, 0                                      // 000000005854: 7F4E0280

0000000000005858 <label_0696>:
	ds_write_b32 v13, v152                                     // 000000005858: D81A0000 0000980D
	ds_write_b32 v13, v153 offset:1056                         // 000000005860: D81A0420 0000990D
	ds_write_b32 v13, v154 offset:128                          // 000000005868: D81A0080 00009A0D
	ds_write_b32 v13, v155 offset:1184                         // 000000005870: D81A04A0 00009B0D
	ds_write_b32 v13, v156 offset:4352                         // 000000005878: D81A1100 00009C0D
	ds_write_b32 v13, v157 offset:5408                         // 000000005880: D81A1520 00009D0D
	ds_write_b32 v13, v158 offset:4480                         // 000000005888: D81A1180 00009E0D
	ds_write_b32 v13, v159 offset:5536                         // 000000005890: D81A15A0 00009F0D
	ds_write_b32 v13, v160 offset:8704                         // 000000005898: D81A2200 0000A00D
	ds_write_b32 v13, v161 offset:9760                         // 0000000058A0: D81A2620 0000A10D
	ds_write_b32 v13, v162 offset:8832                         // 0000000058A8: D81A2280 0000A20D
	ds_write_b32 v13, v163 offset:9888                         // 0000000058B0: D81A26A0 0000A30D
	ds_write_b32 v13, v164 offset:13056                        // 0000000058B8: D81A3300 0000A40D
	ds_write_b32 v13, v165 offset:14112                        // 0000000058C0: D81A3720 0000A50D
	ds_write_b32 v13, v166 offset:13184                        // 0000000058C8: D81A3380 0000A60D
	ds_write_b32 v13, v167 offset:14240                        // 0000000058D0: D81A37A0 0000A70D
	s_mov_b32 s71, s70                                         // 0000000058D8: BEC70046
	v_lshrrev_b32_e32 v28, 4, v0                               // 0000000058DC: 20380084
	v_and_b32_e32 v29, 1, v28                                  // 0000000058E0: 263A3881
	v_lshlrev_b32_e32 v29, 1, v29                              // 0000000058E4: 243A3A81
	v_mul_i32_i24_e32 v29, s71, v29                            // 0000000058E8: 0C3A3A47
	v_and_b32_e32 v30, 2, v28                                  // 0000000058EC: 263C3882
	v_lshlrev_b32_e32 v30, 5, v30                              // 0000000058F0: 243C3C85
	v_add_u32_e32 v29, v30, v29                                // 0000000058F4: 683A3B1E
	v_and_b32_e32 v28, 15, v0                                  // 0000000058F8: 2638008F
	v_lshlrev_b32_e32 v28, 2, v28                              // 0000000058FC: 24383882
	v_add_u32_e32 v1, v28, v29                                 // 000000005900: 68023B1C
	s_and_b32 s60, 1, s47                                      // 000000005904: 863C2F81
	s_mul_i32 s60, s60, s71                                    // 000000005908: 923C473C
	s_mul_i32 s60, s60, 8                                      // 00000000590C: 923C883C
	s_lshr_b32 s61, s47, 1                                     // 000000005910: 8F3D812F
	s_mul_i32 s61, s61, 0x80                                   // 000000005914: 923DFF3D 00000080
	s_add_u32 s60, s60, s61                                    // 00000000591C: 803C3D3C
	v_add_u32_e32 v1, s60, v1                                  // 000000005920: 6802023C
	v_add_u32_e32 v2, s71, v1                                  // 000000005924: 68040247
	s_mul_i32 s60, 4, s71                                      // 000000005928: 923C4784
	v_add_u32_e32 v3, s60, v1                                  // 00000000592C: 6806023C
	v_add_u32_e32 v4, s60, v2                                  // 000000005930: 6808043C
	v_lshrrev_b32_e32 v1, 2, v1                                // 000000005934: 20020282
	v_lshrrev_b32_e32 v2, 2, v2                                // 000000005938: 20040482
	v_lshrrev_b32_e32 v3, 2, v3                                // 00000000593C: 20060682
	v_lshrrev_b32_e32 v4, 2, v4                                // 000000005940: 20080882
	v_mov_b32_e32 v32, 0                                       // 000000005944: 7E400280
	s_mov_b64 exec, s[94:95]                                   // 000000005948: BEFE015E
	buffer_load_dword v32, v1, s[8:11], 0 idxen                // 00000000594C: E0502000 80022001
	s_mov_b64 exec, s[92:93]                                   // 000000005954: BEFE015C
	v_mov_b32_e32 v33, 0                                       // 000000005958: 7E420280
	s_mov_b64 exec, s[94:95]                                   // 00000000595C: BEFE015E
	buffer_load_dword v33, v2, s[8:11], 0 idxen                // 000000005960: E0502000 80022102
	s_mov_b64 exec, s[92:93]                                   // 000000005968: BEFE015C
	v_mov_b32_e32 v34, 0                                       // 00000000596C: 7E440280
	s_mov_b64 exec, s[94:95]                                   // 000000005970: BEFE015E
	buffer_load_dword v34, v3, s[8:11], 0 idxen                // 000000005974: E0502000 80022203
	s_mov_b64 exec, s[92:93]                                   // 00000000597C: BEFE015C
	v_mov_b32_e32 v35, 0                                       // 000000005980: 7E460280
	s_mov_b64 exec, s[94:95]                                   // 000000005984: BEFE015E
	buffer_load_dword v35, v4, s[8:11], 0 idxen                // 000000005988: E0502000 80022304
	s_mov_b64 exec, s[92:93]                                   // 000000005990: BEFE015C
	v_mov_b32_e32 v40, 0                                       // 000000005994: 7E500280
	s_mov_b64 exec, s[94:95]                                   // 000000005998: BEFE015E
	buffer_load_dword v40, v1, s[20:23], 0 idxen               // 00000000599C: E0502000 80052801
	s_mov_b64 exec, s[92:93]                                   // 0000000059A4: BEFE015C
	v_mov_b32_e32 v41, 0                                       // 0000000059A8: 7E520280
	s_mov_b64 exec, s[94:95]                                   // 0000000059AC: BEFE015E
	buffer_load_dword v41, v2, s[20:23], 0 idxen               // 0000000059B0: E0502000 80052902
	s_mov_b64 exec, s[92:93]                                   // 0000000059B8: BEFE015C
	v_mov_b32_e32 v42, 0                                       // 0000000059BC: 7E540280
	s_mov_b64 exec, s[94:95]                                   // 0000000059C0: BEFE015E
	buffer_load_dword v42, v3, s[20:23], 0 idxen               // 0000000059C4: E0502000 80052A03
	s_mov_b64 exec, s[92:93]                                   // 0000000059CC: BEFE015C
	v_mov_b32_e32 v43, 0                                       // 0000000059D0: 7E560280
	s_mov_b64 exec, s[94:95]                                   // 0000000059D4: BEFE015E
	buffer_load_dword v43, v4, s[20:23], 0 idxen               // 0000000059D8: E0502000 80052B04
	s_mov_b64 exec, s[92:93]                                   // 0000000059E0: BEFE015C
	s_waitcnt lgkmcnt(0)                                       // 0000000059E4: BF8CC07F
	s_barrier                                                  // 0000000059E8: BF8A0000
	ds_read_b128 a[96:99], v24                                 // 0000000059EC: DBFE0000 60000018
	ds_read_b128 a[100:103], v24 offset:512                    // 0000000059F4: DBFE0200 64000018
	ds_read_b128 a[104:107], v24 offset:2176                   // 0000000059FC: DBFE0880 68000018
	ds_read_b128 a[108:111], v24 offset:2688                   // 000000005A04: DBFE0A80 6C000018
	s_add_u32 s8, s68, s8                                      // 000000005A0C: 80080844
	s_addc_u32 s9, 0, s9                                       // 000000005A10: 82090980
	s_add_u32 s20, s68, s20                                    // 000000005A14: 80141444
	s_addc_u32 s21, 0, s21                                     // 000000005A18: 82151580
	s_waitcnt vmcnt(24) lgkmcnt(0)                             // 000000005A1C: BF8C4078
	s_barrier                                                  // 000000005A20: BF8A0000
	s_cmp_lt_i32 1, s72                                        // 000000005A24: BF044881
	s_cbranch_scc1 label_071B                                  // 000000005A28: BF850010
	v_mov_b32_e32 v168, 0                                      // 000000005A2C: 7F500280
	v_mov_b32_e32 v169, 0                                      // 000000005A30: 7F520280
	v_mov_b32_e32 v170, 0                                      // 000000005A34: 7F540280
	v_mov_b32_e32 v171, 0                                      // 000000005A38: 7F560280
	v_mov_b32_e32 v172, 0                                      // 000000005A3C: 7F580280
	v_mov_b32_e32 v173, 0                                      // 000000005A40: 7F5A0280
	v_mov_b32_e32 v174, 0                                      // 000000005A44: 7F5C0280
	v_mov_b32_e32 v175, 0                                      // 000000005A48: 7F5E0280
	v_mov_b32_e32 v176, 0                                      // 000000005A4C: 7F600280
	v_mov_b32_e32 v177, 0                                      // 000000005A50: 7F620280
	v_mov_b32_e32 v178, 0                                      // 000000005A54: 7F640280
	v_mov_b32_e32 v179, 0                                      // 000000005A58: 7F660280
	v_mov_b32_e32 v180, 0                                      // 000000005A5C: 7F680280
	v_mov_b32_e32 v181, 0                                      // 000000005A60: 7F6A0280
	v_mov_b32_e32 v182, 0                                      // 000000005A64: 7F6C0280
	v_mov_b32_e32 v183, 0                                      // 000000005A68: 7F6E0280

0000000000005a6c <label_071B>:
	ds_write_b32 v13, v168                                     // 000000005A6C: D81A0000 0000A80D
	ds_write_b32 v13, v169 offset:1056                         // 000000005A74: D81A0420 0000A90D
	ds_write_b32 v13, v170 offset:128                          // 000000005A7C: D81A0080 0000AA0D
	ds_write_b32 v13, v171 offset:1184                         // 000000005A84: D81A04A0 0000AB0D
	ds_write_b32 v13, v172 offset:4352                         // 000000005A8C: D81A1100 0000AC0D
	ds_write_b32 v13, v173 offset:5408                         // 000000005A94: D81A1520 0000AD0D
	ds_write_b32 v13, v174 offset:4480                         // 000000005A9C: D81A1180 0000AE0D
	ds_write_b32 v13, v175 offset:5536                         // 000000005AA4: D81A15A0 0000AF0D
	ds_write_b32 v13, v176 offset:8704                         // 000000005AAC: D81A2200 0000B00D
	ds_write_b32 v13, v177 offset:9760                         // 000000005AB4: D81A2620 0000B10D
	ds_write_b32 v13, v178 offset:8832                         // 000000005ABC: D81A2280 0000B20D
	ds_write_b32 v13, v179 offset:9888                         // 000000005AC4: D81A26A0 0000B30D
	ds_write_b32 v13, v180 offset:13056                        // 000000005ACC: D81A3300 0000B40D
	ds_write_b32 v13, v181 offset:14112                        // 000000005AD4: D81A3720 0000B50D
	ds_write_b32 v13, v182 offset:13184                        // 000000005ADC: D81A3380 0000B60D
	ds_write_b32 v13, v183 offset:14240                        // 000000005AE4: D81A37A0 0000B70D
	v_mov_b32_e32 v36, 0                                       // 000000005AEC: 7E480280
	s_mov_b64 exec, s[94:95]                                   // 000000005AF0: BEFE015E
	buffer_load_dword v36, v1, s[8:11], 0 idxen                // 000000005AF4: E0502000 80022401
	s_mov_b64 exec, s[92:93]                                   // 000000005AFC: BEFE015C
	v_mov_b32_e32 v37, 0                                       // 000000005B00: 7E4A0280
	s_mov_b64 exec, s[94:95]                                   // 000000005B04: BEFE015E
	buffer_load_dword v37, v2, s[8:11], 0 idxen                // 000000005B08: E0502000 80022502
	s_mov_b64 exec, s[92:93]                                   // 000000005B10: BEFE015C
	v_mov_b32_e32 v38, 0                                       // 000000005B14: 7E4C0280
	s_mov_b64 exec, s[94:95]                                   // 000000005B18: BEFE015E
	buffer_load_dword v38, v3, s[8:11], 0 idxen                // 000000005B1C: E0502000 80022603
	s_mov_b64 exec, s[92:93]                                   // 000000005B24: BEFE015C
	v_mov_b32_e32 v39, 0                                       // 000000005B28: 7E4E0280
	s_mov_b64 exec, s[94:95]                                   // 000000005B2C: BEFE015E
	buffer_load_dword v39, v4, s[8:11], 0 idxen                // 000000005B30: E0502000 80022704
	s_mov_b64 exec, s[92:93]                                   // 000000005B38: BEFE015C
	v_mov_b32_e32 v44, 0                                       // 000000005B3C: 7E580280
	s_mov_b64 exec, s[94:95]                                   // 000000005B40: BEFE015E
	buffer_load_dword v44, v1, s[20:23], 0 idxen               // 000000005B44: E0502000 80052C01
	s_mov_b64 exec, s[92:93]                                   // 000000005B4C: BEFE015C
	v_mov_b32_e32 v45, 0                                       // 000000005B50: 7E5A0280
	s_mov_b64 exec, s[94:95]                                   // 000000005B54: BEFE015E
	buffer_load_dword v45, v2, s[20:23], 0 idxen               // 000000005B58: E0502000 80052D02
	s_mov_b64 exec, s[92:93]                                   // 000000005B60: BEFE015C
	v_mov_b32_e32 v46, 0                                       // 000000005B64: 7E5C0280
	s_mov_b64 exec, s[94:95]                                   // 000000005B68: BEFE015E
	buffer_load_dword v46, v3, s[20:23], 0 idxen               // 000000005B6C: E0502000 80052E03
	s_mov_b64 exec, s[92:93]                                   // 000000005B74: BEFE015C
	v_mov_b32_e32 v47, 0                                       // 000000005B78: 7E5E0280
	s_mov_b64 exec, s[94:95]                                   // 000000005B7C: BEFE015E
	buffer_load_dword v47, v4, s[20:23], 0 idxen               // 000000005B80: E0502000 80052F04
	s_mov_b64 exec, s[92:93]                                   // 000000005B88: BEFE015C
	s_waitcnt lgkmcnt(0)                                       // 000000005B8C: BF8CC07F
	s_barrier                                                  // 000000005B90: BF8A0000
	ds_read_b128 a[112:115], v24                               // 000000005B94: DBFE0000 70000018
	ds_read_b128 a[116:119], v24 offset:512                    // 000000005B9C: DBFE0200 74000018
	ds_read_b128 a[120:123], v24 offset:2176                   // 000000005BA4: DBFE0880 78000018
	ds_read_b128 a[124:127], v24 offset:2688                   // 000000005BAC: DBFE0A80 7C000018
	s_add_u32 s8, s68, s8                                      // 000000005BB4: 80080844
	s_addc_u32 s9, 0, s9                                       // 000000005BB8: 82090980
	s_add_u32 s20, s68, s20                                    // 000000005BBC: 80141444
	s_addc_u32 s21, 0, s21                                     // 000000005BC0: 82151580
	s_waitcnt vmcnt(16) lgkmcnt(0)                             // 000000005BC4: BF8C4070
	s_barrier                                                  // 000000005BC8: BF8A0000
	s_cmp_lt_i32 2, s72                                        // 000000005BCC: BF044882
	s_cbranch_scc1 label_0785                                  // 000000005BD0: BF850010
	v_mov_b32_e32 v184, 0                                      // 000000005BD4: 7F700280
	v_mov_b32_e32 v185, 0                                      // 000000005BD8: 7F720280
	v_mov_b32_e32 v186, 0                                      // 000000005BDC: 7F740280
	v_mov_b32_e32 v187, 0                                      // 000000005BE0: 7F760280
	v_mov_b32_e32 v188, 0                                      // 000000005BE4: 7F780280
	v_mov_b32_e32 v189, 0                                      // 000000005BE8: 7F7A0280
	v_mov_b32_e32 v190, 0                                      // 000000005BEC: 7F7C0280
	v_mov_b32_e32 v191, 0                                      // 000000005BF0: 7F7E0280
	v_mov_b32_e32 v192, 0                                      // 000000005BF4: 7F800280
	v_mov_b32_e32 v193, 0                                      // 000000005BF8: 7F820280
	v_mov_b32_e32 v194, 0                                      // 000000005BFC: 7F840280
	v_mov_b32_e32 v195, 0                                      // 000000005C00: 7F860280
	v_mov_b32_e32 v196, 0                                      // 000000005C04: 7F880280
	v_mov_b32_e32 v197, 0                                      // 000000005C08: 7F8A0280
	v_mov_b32_e32 v198, 0                                      // 000000005C0C: 7F8C0280
	v_mov_b32_e32 v199, 0                                      // 000000005C10: 7F8E0280

0000000000005c14 <label_0785>:
	ds_write_b32 v13, v184                                     // 000000005C14: D81A0000 0000B80D
	ds_write_b32 v13, v185 offset:1056                         // 000000005C1C: D81A0420 0000B90D
	ds_write_b32 v13, v186 offset:128                          // 000000005C24: D81A0080 0000BA0D
	ds_write_b32 v13, v187 offset:1184                         // 000000005C2C: D81A04A0 0000BB0D
	ds_write_b32 v13, v188 offset:4352                         // 000000005C34: D81A1100 0000BC0D
	ds_write_b32 v13, v189 offset:5408                         // 000000005C3C: D81A1520 0000BD0D
	ds_write_b32 v13, v190 offset:4480                         // 000000005C44: D81A1180 0000BE0D
	ds_write_b32 v13, v191 offset:5536                         // 000000005C4C: D81A15A0 0000BF0D
	ds_write_b32 v13, v192 offset:8704                         // 000000005C54: D81A2200 0000C00D
	ds_write_b32 v13, v193 offset:9760                         // 000000005C5C: D81A2620 0000C10D
	ds_write_b32 v13, v194 offset:8832                         // 000000005C64: D81A2280 0000C20D
	ds_write_b32 v13, v195 offset:9888                         // 000000005C6C: D81A26A0 0000C30D
	ds_write_b32 v13, v196 offset:13056                        // 000000005C74: D81A3300 0000C40D
	ds_write_b32 v13, v197 offset:14112                        // 000000005C7C: D81A3720 0000C50D
	ds_write_b32 v13, v198 offset:13184                        // 000000005C84: D81A3380 0000C60D
	ds_write_b32 v13, v199 offset:14240                        // 000000005C8C: D81A37A0 0000C70D
	s_waitcnt lgkmcnt(0)                                       // 000000005C94: BF8CC07F
	s_barrier                                                  // 000000005C98: BF8A0000
	ds_read_b128 a[128:131], v24                               // 000000005C9C: DBFE0000 80000018
	ds_read_b128 a[132:135], v24 offset:512                    // 000000005CA4: DBFE0200 84000018
	ds_read_b128 a[136:139], v24 offset:2176                   // 000000005CAC: DBFE0880 88000018
	ds_read_b128 a[140:143], v24 offset:2688                   // 000000005CB4: DBFE0A80 8C000018
	s_waitcnt vmcnt(8) lgkmcnt(0)                              // 000000005CBC: BF8C0078
	s_barrier                                                  // 000000005CC0: BF8A0000
	buffer_load_dword v11, s[24:27], 0 idxen lds               // 000000005CC4: E0512000 8006000B
	s_mov_b32 m0, s81                                          // 000000005CCC: BEFC0051
	v_add_u32_e32 v11, s69, v11                                // 000000005CD0: 68161645
	v_perm_b32 v84, v33, v32, s63                              // 000000005CD4: D1ED0054 00FE4121
	v_perm_b32 v85, v33, v32, s64                              // 000000005CDC: D1ED0055 01024121
	v_perm_b32 v86, v35, v34, s63                              // 000000005CE4: D1ED0056 00FE4523
	v_perm_b32 v87, v35, v34, s64                              // 000000005CEC: D1ED0057 01024523
	ds_write_b32 v15, v84 offset:4352                          // 000000005CF4: D81A1100 0000540F
	ds_write_b32 v15, v85 offset:5408                          // 000000005CFC: D81A1520 0000550F
	ds_write_b32 v15, v86 offset:4480                          // 000000005D04: D81A1180 0000560F
	ds_write_b32 v15, v87 offset:5536                          // 000000005D0C: D81A15A0 0000570F
	ds_write_b32 v13, v32                                      // 000000005D14: D81A0000 0000200D
	ds_write_b32 v13, v33 offset:1056                          // 000000005D1C: D81A0420 0000210D
	ds_write_b32 v13, v34 offset:128                           // 000000005D24: D81A0080 0000220D
	ds_write_b32 v13, v35 offset:1184                          // 000000005D2C: D81A04A0 0000230D
	buffer_load_dword v11, s[24:27], 0 idxen lds               // 000000005D34: E0512000 8006000B
	s_mov_b32 m0, s80                                          // 000000005D3C: BEFC0050
	v_add_u32_e32 v11, s69, v11                                // 000000005D40: 68161645
	v_perm_b32 v88, v41, v40, s63                              // 000000005D44: D1ED0058 00FE5129
	v_perm_b32 v89, v41, v40, s64                              // 000000005D4C: D1ED0059 01025129
	v_perm_b32 v90, v43, v42, s63                              // 000000005D54: D1ED005A 00FE552B
	v_perm_b32 v91, v43, v42, s64                              // 000000005D5C: D1ED005B 0102552B
	ds_write_b32 v15, v88 offset:13056                         // 000000005D64: D81A3300 0000580F
	ds_write_b32 v15, v89 offset:14112                         // 000000005D6C: D81A3720 0000590F
	ds_write_b32 v15, v90 offset:13184                         // 000000005D74: D81A3380 00005A0F
	ds_write_b32 v15, v91 offset:14240                         // 000000005D7C: D81A37A0 00005B0F
	ds_write_b32 v13, v40 offset:8704                          // 000000005D84: D81A2200 0000280D
	ds_write_b32 v13, v41 offset:9760                          // 000000005D8C: D81A2620 0000290D
	ds_write_b32 v13, v42 offset:8832                          // 000000005D94: D81A2280 00002A0D
	ds_write_b32 v13, v43 offset:9888                          // 000000005D9C: D81A26A0 00002B0D
	s_waitcnt vmcnt(1) lgkmcnt(0)                              // 000000005DA4: BF8C0071
	s_barrier                                                  // 000000005DA8: BF8A0000
	ds_read_b128 a[144:147], v12                               // 000000005DAC: DBFE0000 9000000C
	ds_read_b128 a[148:151], v12 offset:512                    // 000000005DB4: DBFE0200 9400000C
	ds_read_b128 a[152:155], v12 offset:2176                   // 000000005DBC: DBFE0880 9800000C
	ds_read_b128 a[156:159], v12 offset:2688                   // 000000005DC4: DBFE0A80 9C00000C
	ds_read_b128 v[92:95], v12 offset:8704                     // 000000005DCC: D9FE2200 5C00000C
	ds_read_b128 v[96:99], v12 offset:9216                     // 000000005DD4: D9FE2400 6000000C
	ds_read_b128 v[100:103], v12 offset:10880                  // 000000005DDC: D9FE2A80 6400000C
	ds_read_b128 v[104:107], v12 offset:11392                  // 000000005DE4: D9FE2C80 6800000C
	ds_read_b32 v124, v23 offset:50688                         // 000000005DEC: D86CC600 7C000017
	ds_read_b32 v150, v23 offset:50944                         // 000000005DF4: D86CC700 96000017
	v_accvgpr_write_b32 a160, 0                                // 000000005DFC: D3D940A0 18000080
	v_mov_b32_e32 v152, 0                                      // 000000005E04: 7F300280
	v_accvgpr_write_b32 a161, 0                                // 000000005E08: D3D940A1 18000080
	v_mov_b32_e32 v153, 0                                      // 000000005E10: 7F320280
	v_accvgpr_write_b32 a162, 0                                // 000000005E14: D3D940A2 18000080
	v_mov_b32_e32 v154, 0                                      // 000000005E1C: 7F340280
	v_accvgpr_write_b32 a163, 0                                // 000000005E20: D3D940A3 18000080
	v_mov_b32_e32 v155, 0                                      // 000000005E28: 7F360280
	v_accvgpr_write_b32 a164, 0                                // 000000005E2C: D3D940A4 18000080
	v_mov_b32_e32 v156, 0                                      // 000000005E34: 7F380280
	v_accvgpr_write_b32 a165, 0                                // 000000005E38: D3D940A5 18000080
	v_mov_b32_e32 v157, 0                                      // 000000005E40: 7F3A0280
	v_accvgpr_write_b32 a166, 0                                // 000000005E44: D3D940A6 18000080
	v_mov_b32_e32 v158, 0                                      // 000000005E4C: 7F3C0280
	v_accvgpr_write_b32 a167, 0                                // 000000005E50: D3D940A7 18000080
	v_mov_b32_e32 v159, 0                                      // 000000005E58: 7F3E0280
	v_accvgpr_write_b32 a168, 0                                // 000000005E5C: D3D940A8 18000080
	v_mov_b32_e32 v160, 0                                      // 000000005E64: 7F400280
	v_accvgpr_write_b32 a169, 0                                // 000000005E68: D3D940A9 18000080
	v_mov_b32_e32 v161, 0                                      // 000000005E70: 7F420280
	v_accvgpr_write_b32 a170, 0                                // 000000005E74: D3D940AA 18000080
	v_mov_b32_e32 v162, 0                                      // 000000005E7C: 7F440280
	v_accvgpr_write_b32 a171, 0                                // 000000005E80: D3D940AB 18000080
	v_mov_b32_e32 v163, 0                                      // 000000005E88: 7F460280
	v_accvgpr_write_b32 a172, 0                                // 000000005E8C: D3D940AC 18000080
	v_mov_b32_e32 v164, 0                                      // 000000005E94: 7F480280
	v_accvgpr_write_b32 a173, 0                                // 000000005E98: D3D940AD 18000080
	v_mov_b32_e32 v165, 0                                      // 000000005EA0: 7F4A0280
	v_accvgpr_write_b32 a174, 0                                // 000000005EA4: D3D940AE 18000080
	v_mov_b32_e32 v166, 0                                      // 000000005EAC: 7F4C0280
	v_accvgpr_write_b32 a175, 0                                // 000000005EB0: D3D940AF 18000080
	v_mov_b32_e32 v167, 0                                      // 000000005EB8: 7F4E0280
	v_accvgpr_write_b32 a176, 0                                // 000000005EBC: D3D940B0 18000080
	v_mov_b32_e32 v168, 0                                      // 000000005EC4: 7F500280
	v_accvgpr_write_b32 a177, 0                                // 000000005EC8: D3D940B1 18000080
	v_mov_b32_e32 v169, 0                                      // 000000005ED0: 7F520280
	v_accvgpr_write_b32 a178, 0                                // 000000005ED4: D3D940B2 18000080
	v_mov_b32_e32 v170, 0                                      // 000000005EDC: 7F540280
	v_accvgpr_write_b32 a179, 0                                // 000000005EE0: D3D940B3 18000080
	v_mov_b32_e32 v171, 0                                      // 000000005EE8: 7F560280
	v_accvgpr_write_b32 a180, 0                                // 000000005EEC: D3D940B4 18000080
	v_mov_b32_e32 v172, 0                                      // 000000005EF4: 7F580280
	v_accvgpr_write_b32 a181, 0                                // 000000005EF8: D3D940B5 18000080
	v_mov_b32_e32 v173, 0                                      // 000000005F00: 7F5A0280
	v_accvgpr_write_b32 a182, 0                                // 000000005F04: D3D940B6 18000080
	v_mov_b32_e32 v174, 0                                      // 000000005F0C: 7F5C0280
	v_accvgpr_write_b32 a183, 0                                // 000000005F10: D3D940B7 18000080
	v_mov_b32_e32 v175, 0                                      // 000000005F18: 7F5E0280
	v_accvgpr_write_b32 a184, 0                                // 000000005F1C: D3D940B8 18000080
	v_mov_b32_e32 v176, 0                                      // 000000005F24: 7F600280
	v_accvgpr_write_b32 a185, 0                                // 000000005F28: D3D940B9 18000080
	v_mov_b32_e32 v177, 0                                      // 000000005F30: 7F620280
	v_accvgpr_write_b32 a186, 0                                // 000000005F34: D3D940BA 18000080
	v_mov_b32_e32 v178, 0                                      // 000000005F3C: 7F640280
	v_accvgpr_write_b32 a187, 0                                // 000000005F40: D3D940BB 18000080
	v_mov_b32_e32 v179, 0                                      // 000000005F48: 7F660280
	v_accvgpr_write_b32 a188, 0                                // 000000005F4C: D3D940BC 18000080
	v_mov_b32_e32 v180, 0                                      // 000000005F54: 7F680280
	v_accvgpr_write_b32 a189, 0                                // 000000005F58: D3D940BD 18000080
	v_mov_b32_e32 v181, 0                                      // 000000005F60: 7F6A0280
	v_accvgpr_write_b32 a190, 0                                // 000000005F64: D3D940BE 18000080
	v_mov_b32_e32 v182, 0                                      // 000000005F6C: 7F6C0280
	v_accvgpr_write_b32 a191, 0                                // 000000005F70: D3D940BF 18000080
	v_mov_b32_e32 v183, 0                                      // 000000005F78: 7F6E0280
	v_accvgpr_write_b32 a192, 0                                // 000000005F7C: D3D940C0 18000080
	v_mov_b32_e32 v184, 0                                      // 000000005F84: 7F700280
	v_accvgpr_write_b32 a193, 0                                // 000000005F88: D3D940C1 18000080
	v_mov_b32_e32 v185, 0                                      // 000000005F90: 7F720280
	v_accvgpr_write_b32 a194, 0                                // 000000005F94: D3D940C2 18000080
	v_mov_b32_e32 v186, 0                                      // 000000005F9C: 7F740280
	v_accvgpr_write_b32 a195, 0                                // 000000005FA0: D3D940C3 18000080
	v_mov_b32_e32 v187, 0                                      // 000000005FA8: 7F760280
	v_accvgpr_write_b32 a196, 0                                // 000000005FAC: D3D940C4 18000080
	v_mov_b32_e32 v188, 0                                      // 000000005FB4: 7F780280
	v_accvgpr_write_b32 a197, 0                                // 000000005FB8: D3D940C5 18000080
	v_mov_b32_e32 v189, 0                                      // 000000005FC0: 7F7A0280
	v_accvgpr_write_b32 a198, 0                                // 000000005FC4: D3D940C6 18000080
	v_mov_b32_e32 v190, 0                                      // 000000005FCC: 7F7C0280
	v_accvgpr_write_b32 a199, 0                                // 000000005FD0: D3D940C7 18000080
	v_mov_b32_e32 v191, 0                                      // 000000005FD8: 7F7E0280
	v_accvgpr_write_b32 a200, 0                                // 000000005FDC: D3D940C8 18000080
	v_mov_b32_e32 v192, 0                                      // 000000005FE4: 7F800280
	v_accvgpr_write_b32 a201, 0                                // 000000005FE8: D3D940C9 18000080
	v_mov_b32_e32 v193, 0                                      // 000000005FF0: 7F820280
	v_accvgpr_write_b32 a202, 0                                // 000000005FF4: D3D940CA 18000080
	v_mov_b32_e32 v194, 0                                      // 000000005FFC: 7F840280
	v_accvgpr_write_b32 a203, 0                                // 000000006000: D3D940CB 18000080
	v_mov_b32_e32 v195, 0                                      // 000000006008: 7F860280
	v_accvgpr_write_b32 a204, 0                                // 00000000600C: D3D940CC 18000080
	v_mov_b32_e32 v196, 0                                      // 000000006014: 7F880280
	v_accvgpr_write_b32 a205, 0                                // 000000006018: D3D940CD 18000080
	v_mov_b32_e32 v197, 0                                      // 000000006020: 7F8A0280
	v_accvgpr_write_b32 a206, 0                                // 000000006024: D3D940CE 18000080
	v_mov_b32_e32 v198, 0                                      // 00000000602C: 7F8C0280
	v_accvgpr_write_b32 a207, 0                                // 000000006030: D3D940CF 18000080
	v_mov_b32_e32 v199, 0                                      // 000000006038: 7F8E0280
	v_accvgpr_write_b32 a208, 0                                // 00000000603C: D3D940D0 18000080
	v_mov_b32_e32 v200, 0                                      // 000000006044: 7F900280
	v_accvgpr_write_b32 a209, 0                                // 000000006048: D3D940D1 18000080
	v_mov_b32_e32 v201, 0                                      // 000000006050: 7F920280
	v_accvgpr_write_b32 a210, 0                                // 000000006054: D3D940D2 18000080
	v_mov_b32_e32 v202, 0                                      // 00000000605C: 7F940280
	v_accvgpr_write_b32 a211, 0                                // 000000006060: D3D940D3 18000080
	v_mov_b32_e32 v203, 0                                      // 000000006068: 7F960280
	v_accvgpr_write_b32 a212, 0                                // 00000000606C: D3D940D4 18000080
	v_mov_b32_e32 v204, 0                                      // 000000006074: 7F980280
	v_accvgpr_write_b32 a213, 0                                // 000000006078: D3D940D5 18000080
	v_mov_b32_e32 v205, 0                                      // 000000006080: 7F9A0280
	v_accvgpr_write_b32 a214, 0                                // 000000006084: D3D940D6 18000080
	v_mov_b32_e32 v206, 0                                      // 00000000608C: 7F9C0280
	v_accvgpr_write_b32 a215, 0                                // 000000006090: D3D940D7 18000080
	v_mov_b32_e32 v207, 0                                      // 000000006098: 7F9E0280
	v_accvgpr_write_b32 a216, 0                                // 00000000609C: D3D940D8 18000080
	v_mov_b32_e32 v208, 0                                      // 0000000060A4: 7FA00280
	v_accvgpr_write_b32 a217, 0                                // 0000000060A8: D3D940D9 18000080
	v_mov_b32_e32 v209, 0                                      // 0000000060B0: 7FA20280
	v_accvgpr_write_b32 a218, 0                                // 0000000060B4: D3D940DA 18000080
	v_mov_b32_e32 v210, 0                                      // 0000000060BC: 7FA40280
	v_accvgpr_write_b32 a219, 0                                // 0000000060C0: D3D940DB 18000080
	v_mov_b32_e32 v211, 0                                      // 0000000060C8: 7FA60280
	v_accvgpr_write_b32 a220, 0                                // 0000000060CC: D3D940DC 18000080
	v_mov_b32_e32 v212, 0                                      // 0000000060D4: 7FA80280
	v_accvgpr_write_b32 a221, 0                                // 0000000060D8: D3D940DD 18000080
	v_mov_b32_e32 v213, 0                                      // 0000000060E0: 7FAA0280
	v_accvgpr_write_b32 a222, 0                                // 0000000060E4: D3D940DE 18000080
	v_mov_b32_e32 v214, 0                                      // 0000000060EC: 7FAC0280
	v_accvgpr_write_b32 a223, 0                                // 0000000060F0: D3D940DF 18000080
	v_mov_b32_e32 v215, 0                                      // 0000000060F8: 7FAE0280
	v_accvgpr_write_b32 a224, 0                                // 0000000060FC: D3D940E0 18000080
	v_mov_b32_e32 v216, 0                                      // 000000006104: 7FB00280
	v_accvgpr_write_b32 a225, 0                                // 000000006108: D3D940E1 18000080
	v_mov_b32_e32 v217, 0                                      // 000000006110: 7FB20280
	v_accvgpr_write_b32 a226, 0                                // 000000006114: D3D940E2 18000080
	v_mov_b32_e32 v218, 0                                      // 00000000611C: 7FB40280
	v_accvgpr_write_b32 a227, 0                                // 000000006120: D3D940E3 18000080
	v_mov_b32_e32 v219, 0                                      // 000000006128: 7FB60280
	v_accvgpr_write_b32 a228, 0                                // 00000000612C: D3D940E4 18000080
	v_mov_b32_e32 v220, 0                                      // 000000006134: 7FB80280
	v_accvgpr_write_b32 a229, 0                                // 000000006138: D3D940E5 18000080
	v_mov_b32_e32 v221, 0                                      // 000000006140: 7FBA0280
	v_accvgpr_write_b32 a230, 0                                // 000000006144: D3D940E6 18000080
	v_mov_b32_e32 v222, 0                                      // 00000000614C: 7FBC0280
	v_accvgpr_write_b32 a231, 0                                // 000000006150: D3D940E7 18000080
	v_mov_b32_e32 v223, 0                                      // 000000006158: 7FBE0280
	v_accvgpr_write_b32 a232, 0                                // 00000000615C: D3D940E8 18000080
	v_mov_b32_e32 v224, 0                                      // 000000006164: 7FC00280
	v_accvgpr_write_b32 a233, 0                                // 000000006168: D3D940E9 18000080
	v_mov_b32_e32 v225, 0                                      // 000000006170: 7FC20280
	v_accvgpr_write_b32 a234, 0                                // 000000006174: D3D940EA 18000080
	v_mov_b32_e32 v226, 0                                      // 00000000617C: 7FC40280
	v_accvgpr_write_b32 a235, 0                                // 000000006180: D3D940EB 18000080
	v_mov_b32_e32 v227, 0                                      // 000000006188: 7FC60280
	v_accvgpr_write_b32 a236, 0                                // 00000000618C: D3D940EC 18000080
	v_mov_b32_e32 v228, 0                                      // 000000006194: 7FC80280
	v_accvgpr_write_b32 a237, 0                                // 000000006198: D3D940ED 18000080
	v_mov_b32_e32 v229, 0                                      // 0000000061A0: 7FCA0280
	v_accvgpr_write_b32 a238, 0                                // 0000000061A4: D3D940EE 18000080
	v_mov_b32_e32 v230, 0                                      // 0000000061AC: 7FCC0280
	v_accvgpr_write_b32 a239, 0                                // 0000000061B0: D3D940EF 18000080
	v_mov_b32_e32 v231, 0                                      // 0000000061B8: 7FCE0280
	v_accvgpr_write_b32 a240, 0                                // 0000000061BC: D3D940F0 18000080
	v_mov_b32_e32 v232, 0                                      // 0000000061C4: 7FD00280
	v_accvgpr_write_b32 a241, 0                                // 0000000061C8: D3D940F1 18000080
	v_mov_b32_e32 v233, 0                                      // 0000000061D0: 7FD20280
	v_accvgpr_write_b32 a242, 0                                // 0000000061D4: D3D940F2 18000080
	v_mov_b32_e32 v234, 0                                      // 0000000061DC: 7FD40280
	v_accvgpr_write_b32 a243, 0                                // 0000000061E0: D3D940F3 18000080
	v_mov_b32_e32 v235, 0                                      // 0000000061E8: 7FD60280
	v_accvgpr_write_b32 a244, 0                                // 0000000061EC: D3D940F4 18000080
	v_mov_b32_e32 v236, 0                                      // 0000000061F4: 7FD80280
	v_accvgpr_write_b32 a245, 0                                // 0000000061F8: D3D940F5 18000080
	v_mov_b32_e32 v237, 0                                      // 000000006200: 7FDA0280
	v_accvgpr_write_b32 a246, 0                                // 000000006204: D3D940F6 18000080
	v_mov_b32_e32 v238, 0                                      // 00000000620C: 7FDC0280
	v_accvgpr_write_b32 a247, 0                                // 000000006210: D3D940F7 18000080
	v_mov_b32_e32 v239, 0                                      // 000000006218: 7FDE0280
	v_accvgpr_write_b32 a248, 0                                // 00000000621C: D3D940F8 18000080
	v_mov_b32_e32 v240, 0                                      // 000000006224: 7FE00280
	v_accvgpr_write_b32 a249, 0                                // 000000006228: D3D940F9 18000080
	v_mov_b32_e32 v241, 0                                      // 000000006230: 7FE20280
	v_accvgpr_write_b32 a250, 0                                // 000000006234: D3D940FA 18000080
	v_mov_b32_e32 v242, 0                                      // 00000000623C: 7FE40280
	v_accvgpr_write_b32 a251, 0                                // 000000006240: D3D940FB 18000080
	v_mov_b32_e32 v243, 0                                      // 000000006248: 7FE60280
	v_accvgpr_write_b32 a252, 0                                // 00000000624C: D3D940FC 18000080
	v_mov_b32_e32 v244, 0                                      // 000000006254: 7FE80280
	v_accvgpr_write_b32 a253, 0                                // 000000006258: D3D940FD 18000080
	v_mov_b32_e32 v245, 0                                      // 000000006260: 7FEA0280
	v_accvgpr_write_b32 a254, 0                                // 000000006264: D3D940FE 18000080
	v_mov_b32_e32 v246, 0                                      // 00000000626C: 7FEC0280
	v_accvgpr_write_b32 a255, 0                                // 000000006270: D3D940FF 18000080
	v_mov_b32_e32 v247, 0                                      // 000000006278: 7FEE0280
	v_mov_b32_e32 v136, 0                                      // 00000000627C: 7F100280
	v_mov_b32_e32 v137, 0                                      // 000000006280: 7F120280
	v_mov_b32_e32 v138, 0                                      // 000000006284: 7F140280
	v_mov_b32_e32 v139, 0                                      // 000000006288: 7F160280
	v_mov_b32_e32 v140, 0                                      // 00000000628C: 7F180280
	v_mov_b32_e32 v141, 0                                      // 000000006290: 7F1A0280
	v_mov_b32_e32 v142, 0                                      // 000000006294: 7F1C0280
	v_mov_b32_e32 v143, 0                                      // 000000006298: 7F1E0280
	v_mov_b32_e32 v128, 0                                      // 00000000629C: 7F000280
	v_mov_b32_e32 v129, 0                                      // 0000000062A0: 7F020280
	v_mov_b32_e32 v130, 0                                      // 0000000062A4: 7F040280
	v_mov_b32_e32 v131, 0                                      // 0000000062A8: 7F060280
	v_mov_b32_e32 v132, 0                                      // 0000000062AC: 7F080280
	v_mov_b32_e32 v133, 0                                      // 0000000062B0: 7F0A0280
	v_mov_b32_e32 v134, 0                                      // 0000000062B4: 7F0C0280
	v_mov_b32_e32 v135, 0                                      // 0000000062B8: 7F0E0280
	s_waitcnt lgkmcnt(0)                                       // 0000000062BC: BF8CC07F
	s_barrier                                                  // 0000000062C0: BF8A0000
	v_mov_b32_e32 v32, 0                                       // 0000000062C4: 7E400280
	s_mov_b64 exec, s[94:95]                                   // 0000000062C8: BEFE015E
	buffer_load_dword v32, v1, s[8:11], 0 idxen                // 0000000062CC: E0502000 80022001
	s_mov_b64 exec, s[92:93]                                   // 0000000062D4: BEFE015C
	v_mov_b32_e32 v33, 0                                       // 0000000062D8: 7E420280
	s_mov_b64 exec, s[94:95]                                   // 0000000062DC: BEFE015E
	buffer_load_dword v33, v2, s[8:11], 0 idxen                // 0000000062E0: E0502000 80022102
	s_mov_b64 exec, s[92:93]                                   // 0000000062E8: BEFE015C
	v_mov_b32_e32 v34, 0                                       // 0000000062EC: 7E440280
	s_mov_b64 exec, s[94:95]                                   // 0000000062F0: BEFE015E
	buffer_load_dword v34, v3, s[8:11], 0 idxen                // 0000000062F4: E0502000 80022203
	s_mov_b64 exec, s[92:93]                                   // 0000000062FC: BEFE015C
	v_mov_b32_e32 v35, 0                                       // 000000006300: 7E460280
	s_mov_b64 exec, s[94:95]                                   // 000000006304: BEFE015E
	buffer_load_dword v35, v4, s[8:11], 0 idxen                // 000000006308: E0502000 80022304
	s_mov_b64 exec, s[92:93]                                   // 000000006310: BEFE015C
	v_mov_b32_e32 v40, 0                                       // 000000006314: 7E500280
	s_mov_b64 exec, s[94:95]                                   // 000000006318: BEFE015E
	buffer_load_dword v40, v1, s[20:23], 0 idxen               // 00000000631C: E0502000 80052801
	s_mov_b64 exec, s[92:93]                                   // 000000006324: BEFE015C
	v_mov_b32_e32 v41, 0                                       // 000000006328: 7E520280
	s_mov_b64 exec, s[94:95]                                   // 00000000632C: BEFE015E
	buffer_load_dword v41, v2, s[20:23], 0 idxen               // 000000006330: E0502000 80052902
	s_mov_b64 exec, s[92:93]                                   // 000000006338: BEFE015C
	v_mov_b32_e32 v42, 0                                       // 00000000633C: 7E540280
	s_mov_b64 exec, s[94:95]                                   // 000000006340: BEFE015E
	buffer_load_dword v42, v3, s[20:23], 0 idxen               // 000000006344: E0502000 80052A03
	s_mov_b64 exec, s[92:93]                                   // 00000000634C: BEFE015C
	v_mov_b32_e32 v43, 0                                       // 000000006350: 7E560280
	s_mov_b64 exec, s[94:95]                                   // 000000006354: BEFE015E
	buffer_load_dword v43, v4, s[20:23], 0 idxen               // 000000006358: E0502000 80052B04
	s_mov_b64 exec, s[92:93]                                   // 000000006360: BEFE015C
	buffer_load_dword v11, s[24:27], 0 idxen lds               // 000000006364: E0512000 8006000B
	s_mov_b32 m0, s81                                          // 00000000636C: BEFC0051
	v_add_u32_e32 v11, s69, v11                                // 000000006370: 68161645
	s_add_u32 s8, s68, s8                                      // 000000006374: 80080844
	s_addc_u32 s9, 0, s9                                       // 000000006378: 82090980
	s_add_u32 s20, s68, s20                                    // 00000000637C: 80141444
	s_addc_u32 s21, 0, s21                                     // 000000006380: 82151580
	v_mul_f32_e32 v124, s49, v124                              // 000000006384: 0AF8F831
	v_perm_b32 v84, v37, v36, s63                              // 000000006388: D1ED0054 00FE4925
	v_perm_b32 v85, v37, v36, s64                              // 000000006390: D1ED0055 01024925
	v_perm_b32 v86, v39, v38, s63                              // 000000006398: D1ED0056 00FE4D27
	v_perm_b32 v87, v39, v38, s64                              // 0000000063A0: D1ED0057 01024D27
	v_perm_b32 v88, v45, v44, s63                              // 0000000063A8: D1ED0058 00FE592D
	v_perm_b32 v89, v45, v44, s64                              // 0000000063B0: D1ED0059 0102592D
	v_perm_b32 v90, v47, v46, s63                              // 0000000063B8: D1ED005A 00FE5D2F
	v_perm_b32 v91, v47, v46, s64                              // 0000000063C0: D1ED005B 01025D2F
	v_mov_b32_dpp v127, v124 quad_perm:[3,3,3,3] row_mask:0xf bank_mask:0xf// 0000000063C8: 7EFE02FA FF00FF7C
	v_mov_b32_dpp v126, v124 quad_perm:[2,2,2,2] row_mask:0xf bank_mask:0xf// 0000000063D0: 7EFC02FA FF00AA7C
	v_mov_b32_dpp v125, v124 quad_perm:[1,1,1,1] row_mask:0xf bank_mask:0xf// 0000000063D8: 7EFA02FA FF00557C
	v_mov_b32_dpp v124, v124 quad_perm:[0,0,0,0] row_mask:0xf bank_mask:0xf// 0000000063E0: 7EF802FA FF00007C
	s_waitcnt vmcnt(9)                                         // 0000000063E8: BF8C0F79
	s_barrier                                                  // 0000000063EC: BF8A0000
	s_cmp_lt_i32 s47, 2                                        // 0000000063F0: BF04822F
	s_cbranch_scc0 label_1135                                  // 0000000063F4: BF8407B7
	s_nop 0                                                    // 0000000063F8: BF800000
	s_nop 0                                                    // 0000000063FC: BF800000
	s_nop 0                                                    // 000000006400: BF800000

0000000000006404 <label_0981>:
	s_waitcnt lgkmcnt(4)                                       // 000000006404: BF8CC47F
	s_barrier                                                  // 000000006408: BF8A0000
	v_mfma_f32_16x16x16_bf16 v[48:51], a[144:145], a[0:1], 0   // 00000000640C: D3E10030 1A020190
	ds_write_b32 v13, v44 offset:8704                          // 000000006414: D81A2200 00002C0D
	ds_write_b32 v13, v45 offset:9760                          // 00000000641C: D81A2620 00002D0D
	v_mfma_f32_16x16x16_bf16 v[48:51], a[146:147], a[2:3], v[48:51]// 000000006424: D3E10030 1CC20592
	v_mul_f32_e32 v128, s48, v128                              // 00000000642C: 0B010030
	v_mul_f32_e32 v129, s48, v129                              // 000000006430: 0B030230
	v_mfma_f32_16x16x16_bf16 v[48:51], a[148:149], a[4:5], v[48:51]// 000000006434: D3E10030 1CC20994
	ds_write_b32 v13, v46 offset:8832                          // 00000000643C: D81A2280 00002E0D
	ds_write_b32 v13, v47 offset:9888                          // 000000006444: D81A26A0 00002F0D
	v_mfma_f32_16x16x16_bf16 v[48:51], a[150:151], a[6:7], v[48:51]// 00000000644C: D3E10030 1CC20D96
	v_mul_f32_e32 v130, s48, v130                              // 000000006454: 0B050430
	v_mul_f32_e32 v131, s48, v131                              // 000000006458: 0B070630
	v_mfma_f32_16x16x16_bf16 v[48:51], a[152:153], a[8:9], v[48:51]// 00000000645C: D3E10030 1CC21198
	v_mul_f32_e32 v132, s48, v132                              // 000000006464: 0B090830
	v_mul_f32_e32 v133, s48, v133                              // 000000006468: 0B0B0A30
	v_mfma_f32_16x16x16_bf16 v[48:51], a[154:155], a[10:11], v[48:51]// 00000000646C: D3E10030 1CC2159A
	v_mul_f32_e32 v134, s48, v134                              // 000000006474: 0B0D0C30
	v_mul_f32_e32 v135, s48, v135                              // 000000006478: 0B0F0E30
	v_mfma_f32_16x16x16_bf16 v[48:51], a[156:157], a[12:13], v[48:51]// 00000000647C: D3E10030 1CC2199C
	v_cmp_u_f32_e64 s[78:79], v128, v128                       // 000000006484: D048004E 00030180
	v_bfe_u32 v248, v128, 16, 1                                // 00000000648C: D1C800F8 02052180
	v_add3_u32 v248, v128, v248, v251                          // 000000006494: D1FF00F8 07EFF180
	v_cndmask_b32_e64 v28, v248, v250, s[78:79]                // 00000000649C: D100001C 013BF5F8
	v_lshrrev_b32_e32 v28, 16, v28                             // 0000000064A4: 20383890
	v_cmp_u_f32_e64 s[78:79], v129, v129                       // 0000000064A8: D048004E 00030381
	v_bfe_u32 v248, v129, 16, 1                                // 0000000064B0: D1C800F8 02052181
	v_add3_u32 v248, v129, v248, v251                          // 0000000064B8: D1FF00F8 07EFF181
	v_cndmask_b32_e64 v29, v248, v250, s[78:79]                // 0000000064C0: D100001D 013BF5F8
	v_and_or_b32 v128, v29, v249, v28                          // 0000000064C8: D2010080 0473F31D
	v_cmp_u_f32_e64 s[78:79], v130, v130                       // 0000000064D0: D048004E 00030582
	v_bfe_u32 v248, v130, 16, 1                                // 0000000064D8: D1C800F8 02052182
	v_add3_u32 v248, v130, v248, v251                          // 0000000064E0: D1FF00F8 07EFF182
	v_cndmask_b32_e64 v28, v248, v250, s[78:79]                // 0000000064E8: D100001C 013BF5F8
	v_lshrrev_b32_e32 v28, 16, v28                             // 0000000064F0: 20383890
	v_cmp_u_f32_e64 s[78:79], v131, v131                       // 0000000064F4: D048004E 00030783
	v_bfe_u32 v248, v131, 16, 1                                // 0000000064FC: D1C800F8 02052183
	v_add3_u32 v248, v131, v248, v251                          // 000000006504: D1FF00F8 07EFF183
	v_cndmask_b32_e64 v29, v248, v250, s[78:79]                // 00000000650C: D100001D 013BF5F8
	v_and_or_b32 v129, v29, v249, v28                          // 000000006514: D2010081 0473F31D
	v_mfma_f32_16x16x16_bf16 v[48:51], a[158:159], a[14:15], v[48:51]// 00000000651C: D3E10030 1CC21D9E
	v_cmp_u_f32_e64 s[78:79], v132, v132                       // 000000006524: D048004E 00030984
	v_bfe_u32 v248, v132, 16, 1                                // 00000000652C: D1C800F8 02052184
	v_add3_u32 v248, v132, v248, v251                          // 000000006534: D1FF00F8 07EFF184
	v_cndmask_b32_e64 v28, v248, v250, s[78:79]                // 00000000653C: D100001C 013BF5F8
	v_lshrrev_b32_e32 v28, 16, v28                             // 000000006544: 20383890
	v_cmp_u_f32_e64 s[78:79], v133, v133                       // 000000006548: D048004E 00030B85
	v_bfe_u32 v248, v133, 16, 1                                // 000000006550: D1C800F8 02052185
	v_add3_u32 v248, v133, v248, v251                          // 000000006558: D1FF00F8 07EFF185
	v_cndmask_b32_e64 v29, v248, v250, s[78:79]                // 000000006560: D100001D 013BF5F8
	v_and_or_b32 v130, v29, v249, v28                          // 000000006568: D2010082 0473F31D
	v_cmp_u_f32_e64 s[78:79], v134, v134                       // 000000006570: D048004E 00030D86
	v_bfe_u32 v248, v134, 16, 1                                // 000000006578: D1C800F8 02052186
	v_add3_u32 v248, v134, v248, v251                          // 000000006580: D1FF00F8 07EFF186
	v_cndmask_b32_e64 v28, v248, v250, s[78:79]                // 000000006588: D100001C 013BF5F8
	v_lshrrev_b32_e32 v28, 16, v28                             // 000000006590: 20383890
	v_cmp_u_f32_e64 s[78:79], v135, v135                       // 000000006594: D048004E 00030F87
	v_bfe_u32 v248, v135, 16, 1                                // 00000000659C: D1C800F8 02052187
	v_add3_u32 v248, v135, v248, v251                          // 0000000065A4: D1FF00F8 07EFF187
	v_cndmask_b32_e64 v29, v248, v250, s[78:79]                // 0000000065AC: D100001D 013BF5F8
	v_and_or_b32 v131, v29, v249, v28                          // 0000000065B4: D2010083 0473F31D
	v_mfma_f32_16x16x16_bf16 v[52:55], a[144:145], a[16:17], 0 // 0000000065BC: D3E10034 1A022190
	ds_write_b64 v22, v[128:129] offset:24320                  // 0000000065C4: D89A5F00 00008016
	v_mfma_f32_16x16x16_bf16 v[52:55], a[146:147], a[18:19], v[52:55]// 0000000065CC: D3E10034 1CD22592
	v_mfma_f32_16x16x16_bf16 v[52:55], a[148:149], a[20:21], v[52:55]// 0000000065D4: D3E10034 1CD22994
	ds_write_b64 v22, v[130:131] offset:24864                  // 0000000065DC: D89A6120 00008216
	v_mfma_f32_16x16x16_bf16 v[52:55], a[150:151], a[22:23], v[52:55]// 0000000065E4: D3E10034 1CD22D96
	v_mfma_f32_16x16x16_bf16 v[52:55], a[152:153], a[24:25], v[52:55]// 0000000065EC: D3E10034 1CD23198
	ds_read_b128 v[108:111], v14 offset:13056                  // 0000000065F4: D9FE3300 6C00000E
	ds_write_b32 v13, v36                                      // 0000000065FC: D81A0000 0000240D
	v_mfma_f32_16x16x16_bf16 v[52:55], a[154:155], a[26:27], v[52:55]// 000000006604: D3E10034 1CD2359A
	v_mfma_f32_16x16x16_bf16 v[52:55], a[156:157], a[28:29], v[52:55]// 00000000660C: D3E10034 1CD2399C
	v_mfma_f32_16x16x16_bf16 v[52:55], a[158:159], a[30:31], v[52:55]// 000000006614: D3E10034 1CD23D9E
	ds_read_b128 v[112:115], v14 offset:13568                  // 00000000661C: D9FE3500 7000000E
	ds_write_b32 v13, v37 offset:1056                          // 000000006624: D81A0420 0000250D
	v_mfma_f32_16x16x16_bf16 v[56:59], a[144:145], a[32:33], 0 // 00000000662C: D3E10038 1A024190
	v_mfma_f32_16x16x16_bf16 v[56:59], a[146:147], a[34:35], v[56:59]// 000000006634: D3E10038 1CE24592
	v_mfma_f32_16x16x16_bf16 v[56:59], a[148:149], a[36:37], v[56:59]// 00000000663C: D3E10038 1CE24994
	ds_read_b128 v[116:119], v14 offset:15232                  // 000000006644: D9FE3B80 7400000E
	ds_write_b32 v13, v38 offset:128                           // 00000000664C: D81A0080 0000260D
	v_mfma_f32_16x16x16_bf16 v[56:59], a[150:151], a[38:39], v[56:59]// 000000006654: D3E10038 1CE24D96
	v_mfma_f32_16x16x16_bf16 v[56:59], a[152:153], a[40:41], v[56:59]// 00000000665C: D3E10038 1CE25198
	v_mfma_f32_16x16x16_bf16 v[56:59], a[154:155], a[42:43], v[56:59]// 000000006664: D3E10038 1CE2559A
	ds_read_b128 v[120:123], v14 offset:15744                  // 00000000666C: D9FE3D80 7800000E
	ds_write_b32 v13, v39 offset:1184                          // 000000006674: D81A04A0 0000270D
	v_mfma_f32_16x16x16_bf16 v[56:59], a[156:157], a[44:45], v[56:59]// 00000000667C: D3E10038 1CE2599C
	v_mfma_f32_16x16x16_bf16 v[56:59], a[158:159], a[46:47], v[56:59]// 000000006684: D3E10038 1CE25D9E
	s_cmp_lt_i32 s74, 12                                       // 00000000668C: BF048C4A
	s_cbranch_scc0 label_0A9A                                  // 000000006690: BF840075
	s_mov_b32 s60, 0xffe0fffe                                  // 000000006694: BEBC00FF FFE0FFFE
	s_mov_b32 s61, 0xe000fe00                                  // 00000000669C: BEBD00FF E000FE00
	s_nop 0                                                    // 0000000066A4: BF800000
	s_add_u32 s62, 0, s47                                      // 0000000066A8: 803E2F80
	s_cmp_lt_i32 s74, s62                                      // 0000000066AC: BF043E4A
	s_cbranch_scc1 label_0A55                                  // 0000000066B0: BF850028
	s_cmp_eq_i32 s74, s62                                      // 0000000066B4: BF003E4A
	s_cbranch_scc1 label_0A3A                                  // 0000000066B8: BF85000B
	s_add_u32 s62, 4, s47                                      // 0000000066BC: 803E2F84
	s_cmp_lt_i32 s74, s62                                      // 0000000066C0: BF043E4A
	s_cbranch_scc1 label_0A75                                  // 0000000066C4: BF850043
	s_cmp_eq_i32 s74, s62                                      // 0000000066C8: BF003E4A
	s_cbranch_scc1 label_0A5A                                  // 0000000066CC: BF850026
	s_add_u32 s62, 8, s47                                      // 0000000066D0: 803E2F88
	s_cmp_lt_i32 s74, s62                                      // 0000000066D4: BF043E4A
	s_cbranch_scc1 label_0A95                                  // 0000000066D8: BF85005E
	s_cmp_eq_i32 s74, s62                                      // 0000000066DC: BF003E4A
	s_cbranch_scc1 label_0A7A                                  // 0000000066E0: BF850041
	s_branch label_0A9A                                        // 0000000066E4: BF820060

00000000000066e8 <label_0A3A>:
	v_cndmask_b32_e64 v48, v48, v151, s[60:61]                 // 0000000066E8: D1000030 00F32F30
	s_lshl_b32 s60, s60, 1                                     // 0000000066F0: 8E3C813C
	s_lshl_b32 s61, s61, 1                                     // 0000000066F4: 8E3D813D
	s_and_b32 s60, 0xfffeffff, s60                             // 0000000066F8: 863C3CFF FFFEFFFF
	s_and_b32 s61, 0xfffeffff, s61                             // 000000006700: 863D3DFF FFFEFFFF
	v_cndmask_b32_e64 v49, v49, v151, s[60:61]                 // 000000006708: D1000031 00F32F31
	s_lshl_b32 s60, s60, 1                                     // 000000006710: 8E3C813C
	s_lshl_b32 s61, s61, 1                                     // 000000006714: 8E3D813D
	s_and_b32 s60, 0xfffeffff, s60                             // 000000006718: 863C3CFF FFFEFFFF
	s_and_b32 s61, 0xfffeffff, s61                             // 000000006720: 863D3DFF FFFEFFFF
	v_cndmask_b32_e64 v50, v50, v151, s[60:61]                 // 000000006728: D1000032 00F32F32
	s_lshl_b32 s60, s60, 1                                     // 000000006730: 8E3C813C
	s_lshl_b32 s61, s61, 1                                     // 000000006734: 8E3D813D
	s_and_b32 s60, 0xfffeffff, s60                             // 000000006738: 863C3CFF FFFEFFFF
	s_and_b32 s61, 0xfffeffff, s61                             // 000000006740: 863D3DFF FFFEFFFF
	v_cndmask_b32_e64 v51, v51, v151, s[60:61]                 // 000000006748: D1000033 00F32F33
	s_branch label_0A75                                        // 000000006750: BF820020

0000000000006754 <label_0A55>:
	v_mov_b32_e32 v48, v151                                    // 000000006754: 7E600397
	v_mov_b32_e32 v49, v151                                    // 000000006758: 7E620397
	v_mov_b32_e32 v50, v151                                    // 00000000675C: 7E640397
	v_mov_b32_e32 v51, v151                                    // 000000006760: 7E660397
	s_branch label_0A75                                        // 000000006764: BF82001B

0000000000006768 <label_0A5A>:
	v_cndmask_b32_e64 v52, v52, v151, s[60:61]                 // 000000006768: D1000034 00F32F34
	s_lshl_b32 s60, s60, 1                                     // 000000006770: 8E3C813C
	s_lshl_b32 s61, s61, 1                                     // 000000006774: 8E3D813D
	s_and_b32 s60, 0xfffeffff, s60                             // 000000006778: 863C3CFF FFFEFFFF
	s_and_b32 s61, 0xfffeffff, s61                             // 000000006780: 863D3DFF FFFEFFFF
	v_cndmask_b32_e64 v53, v53, v151, s[60:61]                 // 000000006788: D1000035 00F32F35
	s_lshl_b32 s60, s60, 1                                     // 000000006790: 8E3C813C
	s_lshl_b32 s61, s61, 1                                     // 000000006794: 8E3D813D
	s_and_b32 s60, 0xfffeffff, s60                             // 000000006798: 863C3CFF FFFEFFFF
	s_and_b32 s61, 0xfffeffff, s61                             // 0000000067A0: 863D3DFF FFFEFFFF
	v_cndmask_b32_e64 v54, v54, v151, s[60:61]                 // 0000000067A8: D1000036 00F32F36
	s_lshl_b32 s60, s60, 1                                     // 0000000067B0: 8E3C813C
	s_lshl_b32 s61, s61, 1                                     // 0000000067B4: 8E3D813D
	s_and_b32 s60, 0xfffeffff, s60                             // 0000000067B8: 863C3CFF FFFEFFFF
	s_and_b32 s61, 0xfffeffff, s61                             // 0000000067C0: 863D3DFF FFFEFFFF
	v_cndmask_b32_e64 v55, v55, v151, s[60:61]                 // 0000000067C8: D1000037 00F32F37
	s_branch label_0A95                                        // 0000000067D0: BF820020

00000000000067d4 <label_0A75>:
	v_mov_b32_e32 v52, v151                                    // 0000000067D4: 7E680397
	v_mov_b32_e32 v53, v151                                    // 0000000067D8: 7E6A0397
	v_mov_b32_e32 v54, v151                                    // 0000000067DC: 7E6C0397
	v_mov_b32_e32 v55, v151                                    // 0000000067E0: 7E6E0397
	s_branch label_0A95                                        // 0000000067E4: BF82001B

00000000000067e8 <label_0A7A>:
	v_cndmask_b32_e64 v56, v56, v151, s[60:61]                 // 0000000067E8: D1000038 00F32F38
	s_lshl_b32 s60, s60, 1                                     // 0000000067F0: 8E3C813C
	s_lshl_b32 s61, s61, 1                                     // 0000000067F4: 8E3D813D
	s_and_b32 s60, 0xfffeffff, s60                             // 0000000067F8: 863C3CFF FFFEFFFF
	s_and_b32 s61, 0xfffeffff, s61                             // 000000006800: 863D3DFF FFFEFFFF
	v_cndmask_b32_e64 v57, v57, v151, s[60:61]                 // 000000006808: D1000039 00F32F39
	s_lshl_b32 s60, s60, 1                                     // 000000006810: 8E3C813C
	s_lshl_b32 s61, s61, 1                                     // 000000006814: 8E3D813D
	s_and_b32 s60, 0xfffeffff, s60                             // 000000006818: 863C3CFF FFFEFFFF
	s_and_b32 s61, 0xfffeffff, s61                             // 000000006820: 863D3DFF FFFEFFFF
	v_cndmask_b32_e64 v58, v58, v151, s[60:61]                 // 000000006828: D100003A 00F32F3A
	s_lshl_b32 s60, s60, 1                                     // 000000006830: 8E3C813C
	s_lshl_b32 s61, s61, 1                                     // 000000006834: 8E3D813D
	s_and_b32 s60, 0xfffeffff, s60                             // 000000006838: 863C3CFF FFFEFFFF
	s_and_b32 s61, 0xfffeffff, s61                             // 000000006840: 863D3DFF FFFEFFFF
	v_cndmask_b32_e64 v59, v59, v151, s[60:61]                 // 000000006848: D100003B 00F32F3B
	s_branch label_0A9A                                        // 000000006850: BF820005

0000000000006854 <label_0A95>:
	v_mov_b32_e32 v56, v151                                    // 000000006854: 7E700397
	v_mov_b32_e32 v57, v151                                    // 000000006858: 7E720397
	v_mov_b32_e32 v58, v151                                    // 00000000685C: 7E740397
	v_mov_b32_e32 v59, v151                                    // 000000006860: 7E760397
	s_branch label_0A9A                                        // 000000006864: BF820000

0000000000006868 <label_0A9A>:
	s_addk_i32 s74, 0x1                                        // 000000006868: B74A0001
	s_waitcnt lgkmcnt(8)                                       // 00000000686C: BF8CC87F
	s_barrier                                                  // 000000006870: BF8A0000
	v_mfma_f32_16x16x16_bf16 v[72:75], v[92:93], a[96:97], 0   // 000000006874: D3E10048 1202C15C
	ds_read_b128 a[144:147], v14 offset:4352                   // 00000000687C: DBFE1100 9000000E
	ds_read_b128 a[148:151], v14 offset:4864                   // 000000006884: DBFE1300 9400000E
	v_mfma_f32_16x16x16_bf16 v[72:75], v[94:95], a[98:99], v[72:75]// 00000000688C: D3E10048 1522C55E
	v_fma_f32 v48, v48, s57, -v124                             // 000000006894: D1CB0030 85F07330
	v_fma_f32 v49, v49, s57, -v125                             // 00000000689C: D1CB0031 85F47331
	v_fma_f32 v50, v50, s57, -v126                             // 0000000068A4: D1CB0032 85F87332
	v_mfma_f32_16x16x16_bf16 v[72:75], v[96:97], a[100:101], v[72:75]// 0000000068AC: D3E10048 1522C960
	v_fma_f32 v51, v51, s57, -v127                             // 0000000068B4: D1CB0033 85FC7333
	v_fma_f32 v52, v52, s57, -v124                             // 0000000068BC: D1CB0034 85F07334
	v_fma_f32 v53, v53, s57, -v125                             // 0000000068C4: D1CB0035 85F47335
	v_mfma_f32_16x16x16_bf16 v[72:75], v[98:99], a[102:103], v[72:75]// 0000000068CC: D3E10048 1522CD62
	v_fma_f32 v54, v54, s57, -v126                             // 0000000068D4: D1CB0036 85F87336
	v_fma_f32 v55, v55, s57, -v127                             // 0000000068DC: D1CB0037 85FC7337
	v_fma_f32 v56, v56, s57, -v124                             // 0000000068E4: D1CB0038 85F07338
	v_mfma_f32_16x16x16_bf16 v[72:75], v[100:101], a[104:105], v[72:75]// 0000000068EC: D3E10048 1522D164
	ds_read_b128 a[152:155], v14 offset:6528                   // 0000000068F4: DBFE1980 9800000E
	ds_read_b128 a[156:159], v14 offset:7040                   // 0000000068FC: DBFE1B80 9C00000E
	v_mfma_f32_16x16x16_bf16 v[72:75], v[102:103], a[106:107], v[72:75]// 000000006904: D3E10048 1522D566
	v_fma_f32 v57, v57, s57, -v125                             // 00000000690C: D1CB0039 85F47339
	v_fma_f32 v58, v58, s57, -v126                             // 000000006914: D1CB003A 85F8733A
	v_fma_f32 v59, v59, s57, -v127                             // 00000000691C: D1CB003B 85FC733B
	v_mfma_f32_16x16x16_bf16 v[72:75], v[104:105], a[108:109], v[72:75]// 000000006924: D3E10048 1522D968
	v_exp_f32_e32 v48, v48                                     // 00000000692C: 7E604130
	v_mfma_f32_16x16x16_bf16 v[72:75], v[106:107], a[110:111], v[72:75]// 000000006930: D3E10048 1522DD6A
	v_exp_f32_e32 v49, v49                                     // 000000006938: 7E624131
	v_mfma_f32_16x16x16_bf16 v[76:79], v[92:93], a[112:113], 0 // 00000000693C: D3E1004C 1202E15C
	ds_read_b32 v136, v21 offset:24320                         // 000000006944: D86C5F00 88000015
	ds_read_b32 v137, v21 offset:24336                         // 00000000694C: D86C5F10 89000015
	v_mfma_f32_16x16x16_bf16 v[76:79], v[94:95], a[114:115], v[76:79]// 000000006954: D3E1004C 1532E55E
	v_exp_f32_e32 v50, v50                                     // 00000000695C: 7E644132
	v_mfma_f32_16x16x16_bf16 v[76:79], v[96:97], a[116:117], v[76:79]// 000000006960: D3E1004C 1532E960
	ds_read_b32 v138, v21 offset:26496                         // 000000006968: D86C6780 8A000015
	ds_read_b32 v139, v21 offset:26512                         // 000000006970: D86C6790 8B000015
	v_mfma_f32_16x16x16_bf16 v[76:79], v[98:99], a[118:119], v[76:79]// 000000006978: D3E1004C 1532ED62
	v_exp_f32_e32 v51, v51                                     // 000000006980: 7E664133
	v_mfma_f32_16x16x16_bf16 v[76:79], v[100:101], a[120:121], v[76:79]// 000000006984: D3E1004C 1532F164
	v_exp_f32_e32 v52, v52                                     // 00000000698C: 7E684134
	v_mfma_f32_16x16x16_bf16 v[76:79], v[102:103], a[122:123], v[76:79]// 000000006990: D3E1004C 1532F566
	v_exp_f32_e32 v53, v53                                     // 000000006998: 7E6A4135
	v_mfma_f32_16x16x16_bf16 v[76:79], v[104:105], a[124:125], v[76:79]// 00000000699C: D3E1004C 1532F968
	v_exp_f32_e32 v54, v54                                     // 0000000069A4: 7E6C4136
	v_mfma_f32_16x16x16_bf16 v[76:79], v[106:107], a[126:127], v[76:79]// 0000000069A8: D3E1004C 1532FD6A
	v_exp_f32_e32 v55, v55                                     // 0000000069B0: 7E6E4137
	v_mfma_f32_16x16x16_bf16 v[80:83], v[92:93], a[128:129], 0 // 0000000069B4: D3E10050 1203015C
	v_exp_f32_e32 v56, v56                                     // 0000000069BC: 7E704138
	v_mfma_f32_16x16x16_bf16 v[80:83], v[94:95], a[130:131], v[80:83]// 0000000069C0: D3E10050 1543055E
	v_exp_f32_e32 v57, v57                                     // 0000000069C8: 7E724139
	v_mfma_f32_16x16x16_bf16 v[80:83], v[96:97], a[132:133], v[80:83]// 0000000069CC: D3E10050 15430960
	v_exp_f32_e32 v58, v58                                     // 0000000069D4: 7E74413A
	v_mfma_f32_16x16x16_bf16 v[80:83], v[98:99], a[134:135], v[80:83]// 0000000069D8: D3E10050 15430D62
	v_exp_f32_e32 v59, v59                                     // 0000000069E0: 7E76413B
	v_mfma_f32_16x16x16_bf16 v[80:83], v[100:101], a[136:137], v[80:83]// 0000000069E4: D3E10050 15431164
	v_cmp_u_f32_e64 s[78:79], v48, v48                         // 0000000069EC: D048004E 00026130
	v_bfe_u32 v248, v48, 16, 1                                 // 0000000069F4: D1C800F8 02052130
	v_add3_u32 v248, v48, v248, v251                           // 0000000069FC: D1FF00F8 07EFF130
	v_cndmask_b32_e64 v28, v248, v250, s[78:79]                // 000000006A04: D100001C 013BF5F8
	v_lshrrev_b32_e32 v28, 16, v28                             // 000000006A0C: 20383890
	v_cmp_u_f32_e64 s[78:79], v49, v49                         // 000000006A10: D048004E 00026331
	v_bfe_u32 v248, v49, 16, 1                                 // 000000006A18: D1C800F8 02052131
	v_add3_u32 v248, v49, v248, v251                           // 000000006A20: D1FF00F8 07EFF131
	v_cndmask_b32_e64 v29, v248, v250, s[78:79]                // 000000006A28: D100001D 013BF5F8
	v_and_or_b32 v144, v29, v249, v28                          // 000000006A30: D2010090 0473F31D
	v_cmp_u_f32_e64 s[78:79], v50, v50                         // 000000006A38: D048004E 00026532
	v_bfe_u32 v248, v50, 16, 1                                 // 000000006A40: D1C800F8 02052132
	v_add3_u32 v248, v50, v248, v251                           // 000000006A48: D1FF00F8 07EFF132
	v_cndmask_b32_e64 v28, v248, v250, s[78:79]                // 000000006A50: D100001C 013BF5F8
	v_lshrrev_b32_e32 v28, 16, v28                             // 000000006A58: 20383890
	v_cmp_u_f32_e64 s[78:79], v51, v51                         // 000000006A5C: D048004E 00026733
	v_bfe_u32 v248, v51, 16, 1                                 // 000000006A64: D1C800F8 02052133
	v_add3_u32 v248, v51, v248, v251                           // 000000006A6C: D1FF00F8 07EFF133
	v_cndmask_b32_e64 v29, v248, v250, s[78:79]                // 000000006A74: D100001D 013BF5F8
	v_and_or_b32 v145, v29, v249, v28                          // 000000006A7C: D2010091 0473F31D
	v_cmp_u_f32_e64 s[78:79], v52, v52                         // 000000006A84: D048004E 00026934
	v_bfe_u32 v248, v52, 16, 1                                 // 000000006A8C: D1C800F8 02052134
	v_add3_u32 v248, v52, v248, v251                           // 000000006A94: D1FF00F8 07EFF134
	v_cndmask_b32_e64 v28, v248, v250, s[78:79]                // 000000006A9C: D100001C 013BF5F8
	v_lshrrev_b32_e32 v28, 16, v28                             // 000000006AA4: 20383890
	v_cmp_u_f32_e64 s[78:79], v53, v53                         // 000000006AA8: D048004E 00026B35
	v_bfe_u32 v248, v53, 16, 1                                 // 000000006AB0: D1C800F8 02052135
	v_add3_u32 v248, v53, v248, v251                           // 000000006AB8: D1FF00F8 07EFF135
	v_cndmask_b32_e64 v29, v248, v250, s[78:79]                // 000000006AC0: D100001D 013BF5F8
	v_and_or_b32 v146, v29, v249, v28                          // 000000006AC8: D2010092 0473F31D
	v_mfma_f32_16x16x16_bf16 v[80:83], v[102:103], a[138:139], v[80:83]// 000000006AD0: D3E10050 15431566
	v_cmp_u_f32_e64 s[78:79], v54, v54                         // 000000006AD8: D048004E 00026D36
	v_bfe_u32 v248, v54, 16, 1                                 // 000000006AE0: D1C800F8 02052136
	v_add3_u32 v248, v54, v248, v251                           // 000000006AE8: D1FF00F8 07EFF136
	v_cndmask_b32_e64 v28, v248, v250, s[78:79]                // 000000006AF0: D100001C 013BF5F8
	v_lshrrev_b32_e32 v28, 16, v28                             // 000000006AF8: 20383890
	v_cmp_u_f32_e64 s[78:79], v55, v55                         // 000000006AFC: D048004E 00026F37
	v_bfe_u32 v248, v55, 16, 1                                 // 000000006B04: D1C800F8 02052137
	v_add3_u32 v248, v55, v248, v251                           // 000000006B0C: D1FF00F8 07EFF137
	v_cndmask_b32_e64 v29, v248, v250, s[78:79]                // 000000006B14: D100001D 013BF5F8
	v_and_or_b32 v147, v29, v249, v28                          // 000000006B1C: D2010093 0473F31D
	v_cmp_u_f32_e64 s[78:79], v56, v56                         // 000000006B24: D048004E 00027138
	v_bfe_u32 v248, v56, 16, 1                                 // 000000006B2C: D1C800F8 02052138
	v_add3_u32 v248, v56, v248, v251                           // 000000006B34: D1FF00F8 07EFF138
	v_cndmask_b32_e64 v28, v248, v250, s[78:79]                // 000000006B3C: D100001C 013BF5F8
	v_lshrrev_b32_e32 v28, 16, v28                             // 000000006B44: 20383890
	v_cmp_u_f32_e64 s[78:79], v57, v57                         // 000000006B48: D048004E 00027339
	v_bfe_u32 v248, v57, 16, 1                                 // 000000006B50: D1C800F8 02052139
	v_add3_u32 v248, v57, v248, v251                           // 000000006B58: D1FF00F8 07EFF139
	v_cndmask_b32_e64 v29, v248, v250, s[78:79]                // 000000006B60: D100001D 013BF5F8
	v_and_or_b32 v148, v29, v249, v28                          // 000000006B68: D2010094 0473F31D
	v_cmp_u_f32_e64 s[78:79], v58, v58                         // 000000006B70: D048004E 0002753A
	v_bfe_u32 v248, v58, 16, 1                                 // 000000006B78: D1C800F8 0205213A
	v_add3_u32 v248, v58, v248, v251                           // 000000006B80: D1FF00F8 07EFF13A
	v_cndmask_b32_e64 v28, v248, v250, s[78:79]                // 000000006B88: D100001C 013BF5F8
	v_lshrrev_b32_e32 v28, 16, v28                             // 000000006B90: 20383890
	v_cmp_u_f32_e64 s[78:79], v59, v59                         // 000000006B94: D048004E 0002773B
	v_bfe_u32 v248, v59, 16, 1                                 // 000000006B9C: D1C800F8 0205213B
	v_add3_u32 v248, v59, v248, v251                           // 000000006BA4: D1FF00F8 07EFF13B
	v_cndmask_b32_e64 v29, v248, v250, s[78:79]                // 000000006BAC: D100001D 013BF5F8
	v_and_or_b32 v149, v29, v249, v28                          // 000000006BB4: D2010095 0473F31D
	v_mfma_f32_16x16x16_bf16 v[80:83], v[104:105], a[140:141], v[80:83]// 000000006BBC: D3E10050 15431968
	s_add_u32 s32, s66, s32                                    // 000000006BC4: 80202042
	s_addc_u32 s33, 0, s33                                     // 000000006BC8: 82212180
	v_mfma_f32_16x16x16_bf16 v[80:83], v[106:107], a[142:143], v[80:83]// 000000006BCC: D3E10050 15431D6A
	s_waitcnt lgkmcnt(0)                                       // 000000006BD4: BF8CC07F
	s_barrier                                                  // 000000006BD8: BF8A0000
	v_mfma_f32_16x16x16_bf16 v[152:155], v[108:109], v[144:145], v[152:155]// 000000006BDC: D3E10098 0663216C
	v_subrev_f32_dpp v72, v150, v72 quad_perm:[0,0,0,0] row_mask:0xf bank_mask:0xf// 000000006BE4: 069090FA FF000096
	v_subrev_f32_dpp v73, v150, v73 quad_perm:[1,1,1,1] row_mask:0xf bank_mask:0xf// 000000006BEC: 069292FA FF005596
	v_subrev_f32_dpp v74, v150, v74 quad_perm:[2,2,2,2] row_mask:0xf bank_mask:0xf// 000000006BF4: 069494FA FF00AA96
	v_mfma_f32_16x16x16_bf16 v[156:159], v[110:111], v[144:145], v[156:159]// 000000006BFC: D3E1009C 0673216E
	v_subrev_f32_dpp v75, v150, v75 quad_perm:[3,3,3,3] row_mask:0xf bank_mask:0xf// 000000006C04: 069696FA FF00FF96
	v_subrev_f32_dpp v76, v150, v76 quad_perm:[0,0,0,0] row_mask:0xf bank_mask:0xf// 000000006C0C: 069898FA FF000096
	v_subrev_f32_dpp v77, v150, v77 quad_perm:[1,1,1,1] row_mask:0xf bank_mask:0xf// 000000006C14: 069A9AFA FF005596
	v_mfma_f32_16x16x16_bf16 v[160:163], v[112:113], v[144:145], v[160:163]// 000000006C1C: D3E100A0 06832170
	v_mul_f32_e32 v72, v48, v72                                // 000000006C24: 0A909130
	v_mul_f32_e32 v73, v49, v73                                // 000000006C28: 0A929331
	v_mul_f32_e32 v74, v50, v74                                // 000000006C2C: 0A949532
	v_mfma_f32_16x16x16_bf16 v[164:167], v[114:115], v[144:145], v[164:167]// 000000006C30: D3E100A4 06932172
	v_mul_f32_e32 v75, v51, v75                                // 000000006C38: 0A969733
	v_mul_f32_e32 v76, v52, v76                                // 000000006C3C: 0A989934
	v_mul_f32_e32 v77, v53, v77                                // 000000006C40: 0A9A9B35
	v_mfma_f32_16x16x16_bf16 v[168:171], v[116:117], v[144:145], v[168:171]// 000000006C44: D3E100A8 06A32174
	v_cmp_u_f32_e64 s[78:79], v72, v72                         // 000000006C4C: D048004E 00029148
	v_bfe_u32 v248, v72, 16, 1                                 // 000000006C54: D1C800F8 02052148
	v_add3_u32 v248, v72, v248, v251                           // 000000006C5C: D1FF00F8 07EFF148
	v_cndmask_b32_e64 v28, v248, v250, s[78:79]                // 000000006C64: D100001C 013BF5F8
	v_lshrrev_b32_e32 v28, 16, v28                             // 000000006C6C: 20383890
	v_cmp_u_f32_e64 s[78:79], v73, v73                         // 000000006C70: D048004E 00029349
	v_bfe_u32 v248, v73, 16, 1                                 // 000000006C78: D1C800F8 02052149
	v_add3_u32 v248, v73, v248, v251                           // 000000006C80: D1FF00F8 07EFF149
	v_cndmask_b32_e64 v29, v248, v250, s[78:79]                // 000000006C88: D100001D 013BF5F8
	v_and_or_b32 v72, v29, v249, v28                           // 000000006C90: D2010048 0473F31D
	v_cmp_u_f32_e64 s[78:79], v74, v74                         // 000000006C98: D048004E 0002954A
	v_bfe_u32 v248, v74, 16, 1                                 // 000000006CA0: D1C800F8 0205214A
	v_add3_u32 v248, v74, v248, v251                           // 000000006CA8: D1FF00F8 07EFF14A
	v_cndmask_b32_e64 v28, v248, v250, s[78:79]                // 000000006CB0: D100001C 013BF5F8
	v_lshrrev_b32_e32 v28, 16, v28                             // 000000006CB8: 20383890
	v_cmp_u_f32_e64 s[78:79], v75, v75                         // 000000006CBC: D048004E 0002974B
	v_bfe_u32 v248, v75, 16, 1                                 // 000000006CC4: D1C800F8 0205214B
	v_add3_u32 v248, v75, v248, v251                           // 000000006CCC: D1FF00F8 07EFF14B
	v_cndmask_b32_e64 v29, v248, v250, s[78:79]                // 000000006CD4: D100001D 013BF5F8
	v_and_or_b32 v73, v29, v249, v28                           // 000000006CDC: D2010049 0473F31D
	v_cmp_u_f32_e64 s[78:79], v76, v76                         // 000000006CE4: D048004E 0002994C
	v_bfe_u32 v248, v76, 16, 1                                 // 000000006CEC: D1C800F8 0205214C
	v_add3_u32 v248, v76, v248, v251                           // 000000006CF4: D1FF00F8 07EFF14C
	v_cndmask_b32_e64 v28, v248, v250, s[78:79]                // 000000006CFC: D100001C 013BF5F8
	v_lshrrev_b32_e32 v28, 16, v28                             // 000000006D04: 20383890
	v_cmp_u_f32_e64 s[78:79], v77, v77                         // 000000006D08: D048004E 00029B4D
	v_bfe_u32 v248, v77, 16, 1                                 // 000000006D10: D1C800F8 0205214D
	v_add3_u32 v248, v77, v248, v251                           // 000000006D18: D1FF00F8 07EFF14D
	v_cndmask_b32_e64 v29, v248, v250, s[78:79]                // 000000006D20: D100001D 013BF5F8
	v_and_or_b32 v74, v29, v249, v28                           // 000000006D28: D201004A 0473F31D
	v_mfma_f32_16x16x16_bf16 v[172:175], v[118:119], v[144:145], v[172:175]// 000000006D30: D3E100AC 06B32176
	v_mov_b32_dpp v18, v72 quad_perm:[1,0,3,2] row_mask:0xf bank_mask:0xf// 000000006D38: 7E2402FA FF00B148
	v_perm_b32 v48, v18, v72, v17                              // 000000006D40: D1ED0030 04469112
	v_mov_b32_dpp v18, v73 quad_perm:[1,0,3,2] row_mask:0xf bank_mask:0xf// 000000006D48: 7E2402FA FF00B149
	v_mfma_f32_16x16x16_bf16 v[176:179], v[120:121], v[144:145], v[176:179]// 000000006D50: D3E100B0 06C32178
	v_perm_b32 v49, v18, v73, v17                              // 000000006D58: D1ED0031 04469312
	v_mov_b32_dpp v18, v74 quad_perm:[1,0,3,2] row_mask:0xf bank_mask:0xf// 000000006D60: 7E2402FA FF00B14A
	v_perm_b32 v50, v18, v74, v17                              // 000000006D68: D1ED0032 04469512
	v_mfma_f32_16x16x16_bf16 v[180:183], v[122:123], v[144:145], v[180:183]// 000000006D70: D3E100B4 06D3217A
	ds_write_b32 v20, v48 offset:17408                         // 000000006D78: D81A4400 00003014
	v_mfma_f32_16x16x16_bf16 v[184:187], v[108:109], v[146:147], v[184:187]// 000000006D80: D3E100B8 06E3256C
	v_subrev_f32_dpp v78, v150, v78 quad_perm:[2,2,2,2] row_mask:0xf bank_mask:0xf// 000000006D88: 069C9CFA FF00AA96
	v_subrev_f32_dpp v79, v150, v79 quad_perm:[3,3,3,3] row_mask:0xf bank_mask:0xf// 000000006D90: 069E9EFA FF00FF96
	v_subrev_f32_dpp v80, v150, v80 quad_perm:[0,0,0,0] row_mask:0xf bank_mask:0xf// 000000006D98: 06A0A0FA FF000096
	v_mfma_f32_16x16x16_bf16 v[188:191], v[110:111], v[146:147], v[188:191]// 000000006DA0: D3E100BC 06F3256E
	ds_write_b32 v20, v49 offset:17952                         // 000000006DA8: D81A4620 00003114
	v_mfma_f32_16x16x16_bf16 v[192:195], v[112:113], v[146:147], v[192:195]// 000000006DB0: D3E100C0 07032570
	v_subrev_f32_dpp v81, v150, v81 quad_perm:[1,1,1,1] row_mask:0xf bank_mask:0xf// 000000006DB8: 06A2A2FA FF005596
	v_subrev_f32_dpp v82, v150, v82 quad_perm:[2,2,2,2] row_mask:0xf bank_mask:0xf// 000000006DC0: 06A4A4FA FF00AA96
	v_subrev_f32_dpp v83, v150, v83 quad_perm:[3,3,3,3] row_mask:0xf bank_mask:0xf// 000000006DC8: 06A6A6FA FF00FF96
	v_mfma_f32_16x16x16_bf16 v[196:199], v[114:115], v[146:147], v[196:199]// 000000006DD0: D3E100C4 07132572
	ds_write_b32 v20, v50 offset:19712                         // 000000006DD8: D81A4D00 00003214
	v_mfma_f32_16x16x16_bf16 v[200:203], v[116:117], v[146:147], v[200:203]// 000000006DE0: D3E100C8 07232574
	v_mul_f32_e32 v78, v54, v78                                // 000000006DE8: 0A9C9D36
	v_mul_f32_e32 v79, v55, v79                                // 000000006DEC: 0A9E9F37
	v_mul_f32_e32 v80, v56, v80                                // 000000006DF0: 0AA0A138
	v_mfma_f32_16x16x16_bf16 v[204:207], v[118:119], v[146:147], v[204:207]// 000000006DF4: D3E100CC 07332576
	v_mul_f32_e32 v81, v57, v81                                // 000000006DFC: 0AA2A339
	v_mul_f32_e32 v82, v58, v82                                // 000000006E00: 0AA4A53A
	v_mul_f32_e32 v83, v59, v83                                // 000000006E04: 0AA6A73B
	v_mfma_f32_16x16x16_bf16 v[208:211], v[120:121], v[146:147], v[208:211]// 000000006E08: D3E100D0 07432578
	v_cmp_u_f32_e64 s[78:79], v78, v78                         // 000000006E10: D048004E 00029D4E
	v_bfe_u32 v248, v78, 16, 1                                 // 000000006E18: D1C800F8 0205214E
	v_add3_u32 v248, v78, v248, v251                           // 000000006E20: D1FF00F8 07EFF14E
	v_cndmask_b32_e64 v28, v248, v250, s[78:79]                // 000000006E28: D100001C 013BF5F8
	v_lshrrev_b32_e32 v28, 16, v28                             // 000000006E30: 20383890
	v_cmp_u_f32_e64 s[78:79], v79, v79                         // 000000006E34: D048004E 00029F4F
	v_bfe_u32 v248, v79, 16, 1                                 // 000000006E3C: D1C800F8 0205214F
	v_add3_u32 v248, v79, v248, v251                           // 000000006E44: D1FF00F8 07EFF14F
	v_cndmask_b32_e64 v29, v248, v250, s[78:79]                // 000000006E4C: D100001D 013BF5F8
	v_and_or_b32 v75, v29, v249, v28                           // 000000006E54: D201004B 0473F31D
	v_cmp_u_f32_e64 s[78:79], v80, v80                         // 000000006E5C: D048004E 0002A150
	v_bfe_u32 v248, v80, 16, 1                                 // 000000006E64: D1C800F8 02052150
	v_add3_u32 v248, v80, v248, v251                           // 000000006E6C: D1FF00F8 07EFF150
	v_cndmask_b32_e64 v28, v248, v250, s[78:79]                // 000000006E74: D100001C 013BF5F8
	v_lshrrev_b32_e32 v28, 16, v28                             // 000000006E7C: 20383890
	v_cmp_u_f32_e64 s[78:79], v81, v81                         // 000000006E80: D048004E 0002A351
	v_bfe_u32 v248, v81, 16, 1                                 // 000000006E88: D1C800F8 02052151
	v_add3_u32 v248, v81, v248, v251                           // 000000006E90: D1FF00F8 07EFF151
	v_cndmask_b32_e64 v29, v248, v250, s[78:79]                // 000000006E98: D100001D 013BF5F8
	v_and_or_b32 v76, v29, v249, v28                           // 000000006EA0: D201004C 0473F31D
	v_cmp_u_f32_e64 s[78:79], v82, v82                         // 000000006EA8: D048004E 0002A552
	v_bfe_u32 v248, v82, 16, 1                                 // 000000006EB0: D1C800F8 02052152
	v_add3_u32 v248, v82, v248, v251                           // 000000006EB8: D1FF00F8 07EFF152
	v_cndmask_b32_e64 v28, v248, v250, s[78:79]                // 000000006EC0: D100001C 013BF5F8
	v_lshrrev_b32_e32 v28, 16, v28                             // 000000006EC8: 20383890
	v_cmp_u_f32_e64 s[78:79], v83, v83                         // 000000006ECC: D048004E 0002A753
	v_bfe_u32 v248, v83, 16, 1                                 // 000000006ED4: D1C800F8 02052153
	v_add3_u32 v248, v83, v248, v251                           // 000000006EDC: D1FF00F8 07EFF153
	v_cndmask_b32_e64 v29, v248, v250, s[78:79]                // 000000006EE4: D100001D 013BF5F8
	v_and_or_b32 v77, v29, v249, v28                           // 000000006EEC: D201004D 0473F31D
	v_mfma_f32_16x16x16_bf16 v[212:215], v[122:123], v[146:147], v[212:215]// 000000006EF4: D3E100D4 0753257A
	v_mov_b32_dpp v18, v75 quad_perm:[1,0,3,2] row_mask:0xf bank_mask:0xf// 000000006EFC: 7E2402FA FF00B14B
	v_perm_b32 v51, v18, v75, v17                              // 000000006F04: D1ED0033 04469712
	v_mov_b32_dpp v18, v76 quad_perm:[1,0,3,2] row_mask:0xf bank_mask:0xf// 000000006F0C: 7E2402FA FF00B14C
	v_mfma_f32_16x16x16_bf16 v[216:219], v[108:109], v[148:149], v[216:219]// 000000006F14: D3E100D8 0763296C
	v_perm_b32 v52, v18, v76, v17                              // 000000006F1C: D1ED0034 04469912
	v_mov_b32_dpp v18, v77 quad_perm:[1,0,3,2] row_mask:0xf bank_mask:0xf// 000000006F24: 7E2402FA FF00B14D
	v_perm_b32 v53, v18, v77, v17                              // 000000006F2C: D1ED0035 04469B12
	v_mfma_f32_16x16x16_bf16 v[220:223], v[110:111], v[148:149], v[220:223]// 000000006F34: D3E100DC 0773296E
	ds_write_b32 v20, v51 offset:20256                         // 000000006F3C: D81A4F20 00003314
	v_mfma_f32_16x16x16_bf16 v[224:227], v[112:113], v[148:149], v[224:227]// 000000006F44: D3E100E0 07832970
	v_mfma_f32_16x16x16_bf16 v[228:231], v[114:115], v[148:149], v[228:231]// 000000006F4C: D3E100E4 07932972
	ds_write_b32 v20, v52 offset:22016                         // 000000006F54: D81A5600 00003414
	ds_write_b32 v20, v53 offset:22560                         // 000000006F5C: D81A5820 00003514
	v_mfma_f32_16x16x16_bf16 v[232:235], v[116:117], v[148:149], v[232:235]// 000000006F64: D3E100E8 07A32974
	v_mfma_f32_16x16x16_bf16 v[236:239], v[118:119], v[148:149], v[236:239]// 000000006F6C: D3E100EC 07B32976
	ds_write_b32 v15, v84 offset:4352                          // 000000006F74: D81A1100 0000540F
	ds_write_b32 v15, v85 offset:5408                          // 000000006F7C: D81A1520 0000550F
	v_mfma_f32_16x16x16_bf16 v[240:243], v[120:121], v[148:149], v[240:243]// 000000006F84: D3E100F0 07C32978
	s_nop 0                                                    // 000000006F8C: BF800000
	s_nop 0                                                    // 000000006F90: BF800000
	s_nop 0                                                    // 000000006F94: BF800000
	v_mfma_f32_16x16x16_bf16 v[244:247], v[122:123], v[148:149], v[244:247]// 000000006F98: D3E100F4 07D3297A
	ds_write_b32 v15, v86 offset:4480                          // 000000006FA0: D81A1180 0000560F
	ds_write_b32 v15, v87 offset:5536                          // 000000006FA8: D81A15A0 0000570F
	s_barrier                                                  // 000000006FB0: BF8A0000
	v_mfma_f32_16x16x16_bf16 a[160:163], a[144:145], v[72:73], a[160:163]// 000000006FB4: D3E180A0 0E829190
	global_atomic_pk_add_bf16 v6, v136, s[32:33]               // 000000006FBC: DD488000 00208806
	v_mfma_f32_16x16x16_bf16 a[164:167], a[146:147], v[72:73], a[164:167]// 000000006FC4: D3E180A4 0E929192
	ds_read_b32 v124, v23 offset:51200                         // 000000006FCC: D86CC800 7C000017
	ds_read_b32 v150, v23 offset:51456                         // 000000006FD4: D86CC900 96000017
	v_mfma_f32_16x16x16_bf16 a[168:171], a[148:149], v[72:73], a[168:171]// 000000006FDC: D3E180A8 0EA29194
	s_waitcnt lgkmcnt(6)                                       // 000000006FE4: BF8CC67F
	s_barrier                                                  // 000000006FE8: BF8A0000
	v_mfma_f32_16x16x16_bf16 a[172:175], a[150:151], v[72:73], a[172:175]// 000000006FEC: D3E180AC 0EB29196
	ds_read_b128 v[48:51], v19 offset:17408                    // 000000006FF4: D9FE4400 30000013
	v_mfma_f32_16x16x16_bf16 a[176:179], a[152:153], v[72:73], a[176:179]// 000000006FFC: D3E180B0 0EC29198
	v_mfma_f32_16x16x16_bf16 a[180:183], a[154:155], v[72:73], a[180:183]// 000000007004: D3E180B4 0ED2919A
	ds_read_b128 v[52:55], v19 offset:18560                    // 00000000700C: D9FE4880 34000013
	v_mfma_f32_16x16x16_bf16 a[184:187], a[156:157], v[72:73], a[184:187]// 000000007014: D3E180B8 0EE2919C
	global_atomic_pk_add_bf16 v8, v137, s[32:33]               // 00000000701C: DD488000 00208908
	v_mfma_f32_16x16x16_bf16 a[188:191], a[158:159], v[72:73], a[188:191]// 000000007024: D3E180BC 0EF2919E
	ds_read_b128 v[56:59], v19 offset:19712                    // 00000000702C: D9FE4D00 38000013
	v_mfma_f32_16x16x16_bf16 a[192:195], a[144:145], v[74:75], a[192:195]// 000000007034: D3E180C0 0F029590
	v_mfma_f32_16x16x16_bf16 a[196:199], a[146:147], v[74:75], a[196:199]// 00000000703C: D3E180C4 0F129592
	ds_read_b128 v[60:63], v19 offset:20864                    // 000000007044: D9FE5180 3C000013
	v_mfma_f32_16x16x16_bf16 a[200:203], a[148:149], v[74:75], a[200:203]// 00000000704C: D3E180C8 0F229594
	v_mfma_f32_16x16x16_bf16 a[204:207], a[150:151], v[74:75], a[204:207]// 000000007054: D3E180CC 0F329596
	ds_read_b128 v[64:67], v19 offset:22016                    // 00000000705C: D9FE5600 40000013
	v_mfma_f32_16x16x16_bf16 a[208:211], a[152:153], v[74:75], a[208:211]// 000000007064: D3E180D0 0F429598
	s_mov_b64 exec, s[98:99]                                   // 00000000706C: BEFE0162
	global_atomic_pk_add_bf16 v6, v138, s[32:33] offset:128    // 000000007070: DD488080 00208A06
	s_mov_b64 exec, s[92:93]                                   // 000000007078: BEFE015C
	v_mfma_f32_16x16x16_bf16 a[212:215], a[154:155], v[74:75], a[212:215]// 00000000707C: D3E180D4 0F52959A
	ds_read_b128 v[68:71], v19 offset:23168                    // 000000007084: D9FE5A80 44000013
	v_mfma_f32_16x16x16_bf16 a[216:219], a[156:157], v[74:75], a[216:219]// 00000000708C: D3E180D8 0F62959C
	v_mfma_f32_16x16x16_bf16 a[220:223], a[158:159], v[74:75], a[220:223]// 000000007094: D3E180DC 0F72959E
	ds_write_b32 v15, v88 offset:13056                         // 00000000709C: D81A3300 0000580F
	v_mfma_f32_16x16x16_bf16 a[224:227], a[144:145], v[76:77], a[224:227]// 0000000070A4: D3E180E0 0F829990
	v_mfma_f32_16x16x16_bf16 a[228:231], a[146:147], v[76:77], a[228:231]// 0000000070AC: D3E180E4 0F929992
	ds_write_b32 v15, v89 offset:14112                         // 0000000070B4: D81A3720 0000590F
	v_mfma_f32_16x16x16_bf16 a[232:235], a[148:149], v[76:77], a[232:235]// 0000000070BC: D3E180E8 0FA29994
	s_mov_b64 exec, s[98:99]                                   // 0000000070C4: BEFE0162
	global_atomic_pk_add_bf16 v8, v139, s[32:33] offset:128    // 0000000070C8: DD488080 00208B08
	s_mov_b64 exec, s[92:93]                                   // 0000000070D0: BEFE015C
	v_mfma_f32_16x16x16_bf16 a[236:239], a[150:151], v[76:77], a[236:239]// 0000000070D4: D3E180EC 0FB29996
	ds_write_b32 v15, v90 offset:13184                         // 0000000070DC: D81A3380 00005A0F
	v_mfma_f32_16x16x16_bf16 a[240:243], a[152:153], v[76:77], a[240:243]// 0000000070E4: D3E180F0 0FC29998
	v_mfma_f32_16x16x16_bf16 a[244:247], a[154:155], v[76:77], a[244:247]// 0000000070EC: D3E180F4 0FD2999A
	ds_write_b32 v15, v91 offset:14240                         // 0000000070F4: D81A37A0 00005B0F
	v_mfma_f32_16x16x16_bf16 a[248:251], a[156:157], v[76:77], a[248:251]// 0000000070FC: D3E180F8 0FE2999C
	v_mfma_f32_16x16x16_bf16 a[252:255], a[158:159], v[76:77], a[252:255]// 000000007104: D3E180FC 0FF2999E
	s_waitcnt vmcnt(4) lgkmcnt(4)                              // 00000000710C: BF8C0474
	s_barrier                                                  // 000000007110: BF8A0000
	v_mfma_f32_16x16x16_bf16 v[128:131], a[48:49], v[48:49], 0 // 000000007114: D3E10080 0A026130
	v_mul_f32_e32 v124, s49, v124                              // 00000000711C: 0AF8F831
	s_nop 0                                                    // 000000007120: BF800000
	v_mfma_f32_16x16x16_bf16 v[128:131], a[52:53], v[50:51], v[128:131]// 000000007124: D3E10080 0E026534
	ds_read_b128 a[144:147], v12                               // 00000000712C: DBFE0000 9000000C
	v_mov_b32_e32 v36, 0                                       // 000000007134: 7E480280
	s_mov_b64 exec, s[94:95]                                   // 000000007138: BEFE015E
	buffer_load_dword v36, v1, s[8:11], 0 idxen                // 00000000713C: E0502000 80022401
	s_mov_b64 exec, s[92:93]                                   // 000000007144: BEFE015C
	v_mfma_f32_16x16x16_bf16 v[128:131], a[56:57], v[52:53], v[128:131]// 000000007148: D3E10080 0E026938
	v_mfma_f32_16x16x16_bf16 v[128:131], a[60:61], v[54:55], v[128:131]// 000000007150: D3E10080 0E026D3C
	ds_read_b128 a[148:151], v12 offset:512                    // 000000007158: DBFE0200 9400000C
	v_mov_b32_e32 v37, 0                                       // 000000007160: 7E4A0280
	s_mov_b64 exec, s[94:95]                                   // 000000007164: BEFE015E
	buffer_load_dword v37, v2, s[8:11], 0 idxen                // 000000007168: E0502000 80022502
	s_mov_b64 exec, s[92:93]                                   // 000000007170: BEFE015C
	v_mfma_f32_16x16x16_bf16 v[128:131], a[64:65], v[56:57], v[128:131]// 000000007174: D3E10080 0E027140
	v_perm_b32 v84, v33, v32, s63                              // 00000000717C: D1ED0054 00FE4121
	v_perm_b32 v85, v33, v32, s64                              // 000000007184: D1ED0055 01024121
	v_mfma_f32_16x16x16_bf16 v[128:131], a[68:69], v[58:59], v[128:131]// 00000000718C: D3E10080 0E027544
	ds_read_b128 a[152:155], v12 offset:2176                   // 000000007194: DBFE0880 9800000C
	v_mov_b32_e32 v38, 0                                       // 00000000719C: 7E4C0280
	s_mov_b64 exec, s[94:95]                                   // 0000000071A0: BEFE015E
	buffer_load_dword v38, v3, s[8:11], 0 idxen                // 0000000071A4: E0502000 80022603
	s_mov_b64 exec, s[92:93]                                   // 0000000071AC: BEFE015C
	v_mfma_f32_16x16x16_bf16 v[128:131], a[72:73], v[60:61], v[128:131]// 0000000071B0: D3E10080 0E027948
	v_perm_b32 v86, v35, v34, s63                              // 0000000071B8: D1ED0056 00FE4523
	v_perm_b32 v87, v35, v34, s64                              // 0000000071C0: D1ED0057 01024523
	v_mfma_f32_16x16x16_bf16 v[128:131], a[76:77], v[62:63], v[128:131]// 0000000071C8: D3E10080 0E027D4C
	ds_read_b128 a[156:159], v12 offset:2688                   // 0000000071D0: DBFE0A80 9C00000C
	v_mov_b32_e32 v39, 0                                       // 0000000071D8: 7E4E0280
	s_mov_b64 exec, s[94:95]                                   // 0000000071DC: BEFE015E
	buffer_load_dword v39, v4, s[8:11], 0 idxen                // 0000000071E0: E0502000 80022704
	s_mov_b64 exec, s[92:93]                                   // 0000000071E8: BEFE015C
	v_mfma_f32_16x16x16_bf16 v[128:131], a[80:81], v[64:65], v[128:131]// 0000000071EC: D3E10080 0E028150
	v_perm_b32 v88, v41, v40, s63                              // 0000000071F4: D1ED0058 00FE5129
	v_perm_b32 v89, v41, v40, s64                              // 0000000071FC: D1ED0059 01025129
	v_mfma_f32_16x16x16_bf16 v[128:131], a[84:85], v[66:67], v[128:131]// 000000007204: D3E10080 0E028554
	ds_read_b128 v[92:95], v12 offset:8704                     // 00000000720C: D9FE2200 5C00000C
	v_mov_b32_e32 v44, 0                                       // 000000007214: 7E580280
	s_mov_b64 exec, s[94:95]                                   // 000000007218: BEFE015E
	buffer_load_dword v44, v1, s[20:23], 0 idxen               // 00000000721C: E0502000 80052C01
	s_mov_b64 exec, s[92:93]                                   // 000000007224: BEFE015C
	v_mfma_f32_16x16x16_bf16 v[128:131], a[88:89], v[68:69], v[128:131]// 000000007228: D3E10080 0E028958
	v_perm_b32 v90, v43, v42, s63                              // 000000007230: D1ED005A 00FE552B
	v_perm_b32 v91, v43, v42, s64                              // 000000007238: D1ED005B 0102552B
	v_mfma_f32_16x16x16_bf16 v[128:131], a[92:93], v[70:71], v[128:131]// 000000007240: D3E10080 0E028D5C
	ds_read_b128 v[96:99], v12 offset:9216                     // 000000007248: D9FE2400 6000000C
	v_mov_b32_e32 v45, 0                                       // 000000007250: 7E5A0280
	s_mov_b64 exec, s[94:95]                                   // 000000007254: BEFE015E
	buffer_load_dword v45, v2, s[20:23], 0 idxen               // 000000007258: E0502000 80052D02
	s_mov_b64 exec, s[92:93]                                   // 000000007260: BEFE015C
	v_mfma_f32_16x16x16_bf16 v[132:135], a[50:51], v[48:49], 0 // 000000007264: D3E10084 0A026132
	v_mov_b32_dpp v127, v124 quad_perm:[3,3,3,3] row_mask:0xf bank_mask:0xf// 00000000726C: 7EFE02FA FF00FF7C
	v_mov_b32_dpp v126, v124 quad_perm:[2,2,2,2] row_mask:0xf bank_mask:0xf// 000000007274: 7EFC02FA FF00AA7C
	v_mfma_f32_16x16x16_bf16 v[132:135], a[54:55], v[50:51], v[132:135]// 00000000727C: D3E10084 0E126536
	ds_read_b128 v[100:103], v12 offset:10880                  // 000000007284: D9FE2A80 6400000C
	v_mov_b32_e32 v46, 0                                       // 00000000728C: 7E5C0280
	s_mov_b64 exec, s[94:95]                                   // 000000007290: BEFE015E
	buffer_load_dword v46, v3, s[20:23], 0 idxen               // 000000007294: E0502000 80052E03
	s_mov_b64 exec, s[92:93]                                   // 00000000729C: BEFE015C
	v_mfma_f32_16x16x16_bf16 v[132:135], a[58:59], v[52:53], v[132:135]// 0000000072A0: D3E10084 0E12693A
	v_mov_b32_dpp v125, v124 quad_perm:[1,1,1,1] row_mask:0xf bank_mask:0xf// 0000000072A8: 7EFA02FA FF00557C
	v_mov_b32_dpp v124, v124 quad_perm:[0,0,0,0] row_mask:0xf bank_mask:0xf// 0000000072B0: 7EF802FA FF00007C
	s_add_u32 s60, 64, s59                                     // 0000000072B8: 803C3BC0
	v_mfma_f32_16x16x16_bf16 v[132:135], a[62:63], v[54:55], v[132:135]// 0000000072BC: D3E10084 0E126D3E
	ds_read_b128 v[104:107], v12 offset:11392                  // 0000000072C4: D9FE2C80 6800000C
	v_mov_b32_e32 v47, 0                                       // 0000000072CC: 7E5E0280
	s_mov_b64 exec, s[94:95]                                   // 0000000072D0: BEFE015E
	buffer_load_dword v47, v4, s[20:23], 0 idxen               // 0000000072D4: E0502000 80052F04
	s_mov_b64 exec, s[92:93]                                   // 0000000072DC: BEFE015C
	v_mfma_f32_16x16x16_bf16 v[132:135], a[66:67], v[56:57], v[132:135]// 0000000072E0: D3E10084 0E127142
	s_cmp_lt_u32 s60, s58                                      // 0000000072E8: BF0A3A3C
	s_cselect_b32 s68, s68, 0                                  // 0000000072EC: 85448044
	s_cselect_b32 s69, s69, 0                                  // 0000000072F0: 85458045
	v_mfma_f32_16x16x16_bf16 v[132:135], a[70:71], v[58:59], v[132:135]// 0000000072F4: D3E10084 0E127546
	buffer_load_dword v11, s[24:27], 0 idxen lds               // 0000000072FC: E0512000 8006000B
	v_mfma_f32_16x16x16_bf16 v[132:135], a[74:75], v[60:61], v[132:135]// 000000007304: D3E10084 0E12794A
	s_add_u32 s8, s68, s8                                      // 00000000730C: 80080844
	s_addc_u32 s9, 0, s9                                       // 000000007310: 82090980
	v_mfma_f32_16x16x16_bf16 v[132:135], a[78:79], v[62:63], v[132:135]// 000000007314: D3E10084 0E127D4E
	s_add_u32 s20, s68, s20                                    // 00000000731C: 80141444
	s_addc_u32 s21, 0, s21                                     // 000000007320: 82151580
	v_mfma_f32_16x16x16_bf16 v[132:135], a[82:83], v[64:65], v[132:135]// 000000007324: D3E10084 0E128152
	s_mov_b32 m0, s80                                          // 00000000732C: BEFC0050
	v_add_u32_e32 v11, s69, v11                                // 000000007330: 68161645
	v_mfma_f32_16x16x16_bf16 v[132:135], a[86:87], v[66:67], v[132:135]// 000000007334: D3E10084 0E128556
	s_cmp_ge_u32 s59, s73                                      // 00000000733C: BF09493B
	s_cselect_b32 s66, s67, s66                                // 000000007340: 85424243
	v_mfma_f32_16x16x16_bf16 v[132:135], a[90:91], v[68:69], v[132:135]// 000000007344: D3E10084 0E12895A
	s_addk_i32 s59, 0x10                                       // 00000000734C: B73B0010
	s_nop 0                                                    // 000000007350: BF800000
	s_cmp_lt_i32 s59, s58                                      // 000000007354: BF043A3B
	v_mfma_f32_16x16x16_bf16 v[132:135], a[94:95], v[70:71], v[132:135]// 000000007358: D3E10084 0E128D5E
	s_cbranch_scc0 label_1132                                  // 000000007360: BF8403D9
	s_waitcnt lgkmcnt(4)                                       // 000000007364: BF8CC47F
	s_barrier                                                  // 000000007368: BF8A0000
	v_mfma_f32_16x16x16_bf16 v[48:51], a[144:145], a[0:1], 0   // 00000000736C: D3E10030 1A020190
	ds_write_b32 v13, v40 offset:8704                          // 000000007374: D81A2200 0000280D
	ds_write_b32 v13, v41 offset:9760                          // 00000000737C: D81A2620 0000290D
	v_mfma_f32_16x16x16_bf16 v[48:51], a[146:147], a[2:3], v[48:51]// 000000007384: D3E10030 1CC20592
	v_mul_f32_e32 v128, s48, v128                              // 00000000738C: 0B010030
	v_mul_f32_e32 v129, s48, v129                              // 000000007390: 0B030230
	v_mfma_f32_16x16x16_bf16 v[48:51], a[148:149], a[4:5], v[48:51]// 000000007394: D3E10030 1CC20994
	ds_write_b32 v13, v42 offset:8832                          // 00000000739C: D81A2280 00002A0D
	ds_write_b32 v13, v43 offset:9888                          // 0000000073A4: D81A26A0 00002B0D
	v_mfma_f32_16x16x16_bf16 v[48:51], a[150:151], a[6:7], v[48:51]// 0000000073AC: D3E10030 1CC20D96
	v_mul_f32_e32 v130, s48, v130                              // 0000000073B4: 0B050430
	v_mul_f32_e32 v131, s48, v131                              // 0000000073B8: 0B070630
	v_mfma_f32_16x16x16_bf16 v[48:51], a[152:153], a[8:9], v[48:51]// 0000000073BC: D3E10030 1CC21198
	v_mul_f32_e32 v132, s48, v132                              // 0000000073C4: 0B090830
	v_mul_f32_e32 v133, s48, v133                              // 0000000073C8: 0B0B0A30
	v_mfma_f32_16x16x16_bf16 v[48:51], a[154:155], a[10:11], v[48:51]// 0000000073CC: D3E10030 1CC2159A
	v_mul_f32_e32 v134, s48, v134                              // 0000000073D4: 0B0D0C30
	v_mul_f32_e32 v135, s48, v135                              // 0000000073D8: 0B0F0E30
	v_mfma_f32_16x16x16_bf16 v[48:51], a[156:157], a[12:13], v[48:51]// 0000000073DC: D3E10030 1CC2199C
	v_cmp_u_f32_e64 s[78:79], v128, v128                       // 0000000073E4: D048004E 00030180
	v_bfe_u32 v248, v128, 16, 1                                // 0000000073EC: D1C800F8 02052180
	v_add3_u32 v248, v128, v248, v251                          // 0000000073F4: D1FF00F8 07EFF180
	v_cndmask_b32_e64 v28, v248, v250, s[78:79]                // 0000000073FC: D100001C 013BF5F8
	v_lshrrev_b32_e32 v28, 16, v28                             // 000000007404: 20383890
	v_cmp_u_f32_e64 s[78:79], v129, v129                       // 000000007408: D048004E 00030381
	v_bfe_u32 v248, v129, 16, 1                                // 000000007410: D1C800F8 02052181
	v_add3_u32 v248, v129, v248, v251                          // 000000007418: D1FF00F8 07EFF181
	v_cndmask_b32_e64 v29, v248, v250, s[78:79]                // 000000007420: D100001D 013BF5F8
	v_and_or_b32 v128, v29, v249, v28                          // 000000007428: D2010080 0473F31D
	v_cmp_u_f32_e64 s[78:79], v130, v130                       // 000000007430: D048004E 00030582
	v_bfe_u32 v248, v130, 16, 1                                // 000000007438: D1C800F8 02052182
	v_add3_u32 v248, v130, v248, v251                          // 000000007440: D1FF00F8 07EFF182
	v_cndmask_b32_e64 v28, v248, v250, s[78:79]                // 000000007448: D100001C 013BF5F8
	v_lshrrev_b32_e32 v28, 16, v28                             // 000000007450: 20383890
	v_cmp_u_f32_e64 s[78:79], v131, v131                       // 000000007454: D048004E 00030783
	v_bfe_u32 v248, v131, 16, 1                                // 00000000745C: D1C800F8 02052183
	v_add3_u32 v248, v131, v248, v251                          // 000000007464: D1FF00F8 07EFF183
	v_cndmask_b32_e64 v29, v248, v250, s[78:79]                // 00000000746C: D100001D 013BF5F8
	v_and_or_b32 v129, v29, v249, v28                          // 000000007474: D2010081 0473F31D
	v_mfma_f32_16x16x16_bf16 v[48:51], a[158:159], a[14:15], v[48:51]// 00000000747C: D3E10030 1CC21D9E
	v_cmp_u_f32_e64 s[78:79], v132, v132                       // 000000007484: D048004E 00030984
	v_bfe_u32 v248, v132, 16, 1                                // 00000000748C: D1C800F8 02052184
	v_add3_u32 v248, v132, v248, v251                          // 000000007494: D1FF00F8 07EFF184
	v_cndmask_b32_e64 v28, v248, v250, s[78:79]                // 00000000749C: D100001C 013BF5F8
	v_lshrrev_b32_e32 v28, 16, v28                             // 0000000074A4: 20383890
	v_cmp_u_f32_e64 s[78:79], v133, v133                       // 0000000074A8: D048004E 00030B85
	v_bfe_u32 v248, v133, 16, 1                                // 0000000074B0: D1C800F8 02052185
	v_add3_u32 v248, v133, v248, v251                          // 0000000074B8: D1FF00F8 07EFF185
	v_cndmask_b32_e64 v29, v248, v250, s[78:79]                // 0000000074C0: D100001D 013BF5F8
	v_and_or_b32 v130, v29, v249, v28                          // 0000000074C8: D2010082 0473F31D
	v_cmp_u_f32_e64 s[78:79], v134, v134                       // 0000000074D0: D048004E 00030D86
	v_bfe_u32 v248, v134, 16, 1                                // 0000000074D8: D1C800F8 02052186
	v_add3_u32 v248, v134, v248, v251                          // 0000000074E0: D1FF00F8 07EFF186
	v_cndmask_b32_e64 v28, v248, v250, s[78:79]                // 0000000074E8: D100001C 013BF5F8
	v_lshrrev_b32_e32 v28, 16, v28                             // 0000000074F0: 20383890
	v_cmp_u_f32_e64 s[78:79], v135, v135                       // 0000000074F4: D048004E 00030F87
	v_bfe_u32 v248, v135, 16, 1                                // 0000000074FC: D1C800F8 02052187
	v_add3_u32 v248, v135, v248, v251                          // 000000007504: D1FF00F8 07EFF187
	v_cndmask_b32_e64 v29, v248, v250, s[78:79]                // 00000000750C: D100001D 013BF5F8
	v_and_or_b32 v131, v29, v249, v28                          // 000000007514: D2010083 0473F31D
	v_mfma_f32_16x16x16_bf16 v[52:55], a[144:145], a[16:17], 0 // 00000000751C: D3E10034 1A022190
	ds_write_b64 v22, v[128:129] offset:24320                  // 000000007524: D89A5F00 00008016
	v_mfma_f32_16x16x16_bf16 v[52:55], a[146:147], a[18:19], v[52:55]// 00000000752C: D3E10034 1CD22592
	v_mfma_f32_16x16x16_bf16 v[52:55], a[148:149], a[20:21], v[52:55]// 000000007534: D3E10034 1CD22994
	ds_write_b64 v22, v[130:131] offset:24864                  // 00000000753C: D89A6120 00008216
	v_mfma_f32_16x16x16_bf16 v[52:55], a[150:151], a[22:23], v[52:55]// 000000007544: D3E10034 1CD22D96
	v_mfma_f32_16x16x16_bf16 v[52:55], a[152:153], a[24:25], v[52:55]// 00000000754C: D3E10034 1CD23198
	ds_read_b128 v[108:111], v14 offset:13056                  // 000000007554: D9FE3300 6C00000E
	ds_write_b32 v13, v32                                      // 00000000755C: D81A0000 0000200D
	v_mfma_f32_16x16x16_bf16 v[52:55], a[154:155], a[26:27], v[52:55]// 000000007564: D3E10034 1CD2359A
	v_mfma_f32_16x16x16_bf16 v[52:55], a[156:157], a[28:29], v[52:55]// 00000000756C: D3E10034 1CD2399C
	v_mfma_f32_16x16x16_bf16 v[52:55], a[158:159], a[30:31], v[52:55]// 000000007574: D3E10034 1CD23D9E
	ds_read_b128 v[112:115], v14 offset:13568                  // 00000000757C: D9FE3500 7000000E
	ds_write_b32 v13, v33 offset:1056                          // 000000007584: D81A0420 0000210D
	v_mfma_f32_16x16x16_bf16 v[56:59], a[144:145], a[32:33], 0 // 00000000758C: D3E10038 1A024190
	v_mfma_f32_16x16x16_bf16 v[56:59], a[146:147], a[34:35], v[56:59]// 000000007594: D3E10038 1CE24592
	v_mfma_f32_16x16x16_bf16 v[56:59], a[148:149], a[36:37], v[56:59]// 00000000759C: D3E10038 1CE24994
	ds_read_b128 v[116:119], v14 offset:15232                  // 0000000075A4: D9FE3B80 7400000E
	ds_write_b32 v13, v34 offset:128                           // 0000000075AC: D81A0080 0000220D
	v_mfma_f32_16x16x16_bf16 v[56:59], a[150:151], a[38:39], v[56:59]// 0000000075B4: D3E10038 1CE24D96
	v_mfma_f32_16x16x16_bf16 v[56:59], a[152:153], a[40:41], v[56:59]// 0000000075BC: D3E10038 1CE25198
	v_mfma_f32_16x16x16_bf16 v[56:59], a[154:155], a[42:43], v[56:59]// 0000000075C4: D3E10038 1CE2559A
	ds_read_b128 v[120:123], v14 offset:15744                  // 0000000075CC: D9FE3D80 7800000E
	ds_write_b32 v13, v35 offset:1184                          // 0000000075D4: D81A04A0 0000230D
	v_mfma_f32_16x16x16_bf16 v[56:59], a[156:157], a[44:45], v[56:59]// 0000000075DC: D3E10038 1CE2599C
	v_mfma_f32_16x16x16_bf16 v[56:59], a[158:159], a[46:47], v[56:59]// 0000000075E4: D3E10038 1CE25D9E
	s_cmp_lt_i32 s74, 12                                       // 0000000075EC: BF048C4A
	s_cbranch_scc0 label_0E72                                  // 0000000075F0: BF840075
	s_mov_b32 s60, 0xffe0fffe                                  // 0000000075F4: BEBC00FF FFE0FFFE
	s_mov_b32 s61, 0xe000fe00                                  // 0000000075FC: BEBD00FF E000FE00
	s_nop 0                                                    // 000000007604: BF800000
	s_add_u32 s62, 0, s47                                      // 000000007608: 803E2F80
	s_cmp_lt_i32 s74, s62                                      // 00000000760C: BF043E4A
	s_cbranch_scc1 label_0E2D                                  // 000000007610: BF850028
	s_cmp_eq_i32 s74, s62                                      // 000000007614: BF003E4A
	s_cbranch_scc1 label_0E12                                  // 000000007618: BF85000B
	s_add_u32 s62, 4, s47                                      // 00000000761C: 803E2F84
	s_cmp_lt_i32 s74, s62                                      // 000000007620: BF043E4A
	s_cbranch_scc1 label_0E4D                                  // 000000007624: BF850043
	s_cmp_eq_i32 s74, s62                                      // 000000007628: BF003E4A
	s_cbranch_scc1 label_0E32                                  // 00000000762C: BF850026
	s_add_u32 s62, 8, s47                                      // 000000007630: 803E2F88
	s_cmp_lt_i32 s74, s62                                      // 000000007634: BF043E4A
	s_cbranch_scc1 label_0E6D                                  // 000000007638: BF85005E
	s_cmp_eq_i32 s74, s62                                      // 00000000763C: BF003E4A
	s_cbranch_scc1 label_0E52                                  // 000000007640: BF850041
	s_branch label_0E72                                        // 000000007644: BF820060

0000000000007648 <label_0E12>:
	v_cndmask_b32_e64 v48, v48, v151, s[60:61]                 // 000000007648: D1000030 00F32F30
	s_lshl_b32 s60, s60, 1                                     // 000000007650: 8E3C813C
	s_lshl_b32 s61, s61, 1                                     // 000000007654: 8E3D813D
	s_and_b32 s60, 0xfffeffff, s60                             // 000000007658: 863C3CFF FFFEFFFF
	s_and_b32 s61, 0xfffeffff, s61                             // 000000007660: 863D3DFF FFFEFFFF
	v_cndmask_b32_e64 v49, v49, v151, s[60:61]                 // 000000007668: D1000031 00F32F31
	s_lshl_b32 s60, s60, 1                                     // 000000007670: 8E3C813C
	s_lshl_b32 s61, s61, 1                                     // 000000007674: 8E3D813D
	s_and_b32 s60, 0xfffeffff, s60                             // 000000007678: 863C3CFF FFFEFFFF
	s_and_b32 s61, 0xfffeffff, s61                             // 000000007680: 863D3DFF FFFEFFFF
	v_cndmask_b32_e64 v50, v50, v151, s[60:61]                 // 000000007688: D1000032 00F32F32
	s_lshl_b32 s60, s60, 1                                     // 000000007690: 8E3C813C
	s_lshl_b32 s61, s61, 1                                     // 000000007694: 8E3D813D
	s_and_b32 s60, 0xfffeffff, s60                             // 000000007698: 863C3CFF FFFEFFFF
	s_and_b32 s61, 0xfffeffff, s61                             // 0000000076A0: 863D3DFF FFFEFFFF
	v_cndmask_b32_e64 v51, v51, v151, s[60:61]                 // 0000000076A8: D1000033 00F32F33
	s_branch label_0E4D                                        // 0000000076B0: BF820020

00000000000076b4 <label_0E2D>:
	v_mov_b32_e32 v48, v151                                    // 0000000076B4: 7E600397
	v_mov_b32_e32 v49, v151                                    // 0000000076B8: 7E620397
	v_mov_b32_e32 v50, v151                                    // 0000000076BC: 7E640397
	v_mov_b32_e32 v51, v151                                    // 0000000076C0: 7E660397
	s_branch label_0E4D                                        // 0000000076C4: BF82001B

00000000000076c8 <label_0E32>:
	v_cndmask_b32_e64 v52, v52, v151, s[60:61]                 // 0000000076C8: D1000034 00F32F34
	s_lshl_b32 s60, s60, 1                                     // 0000000076D0: 8E3C813C
	s_lshl_b32 s61, s61, 1                                     // 0000000076D4: 8E3D813D
	s_and_b32 s60, 0xfffeffff, s60                             // 0000000076D8: 863C3CFF FFFEFFFF
	s_and_b32 s61, 0xfffeffff, s61                             // 0000000076E0: 863D3DFF FFFEFFFF
	v_cndmask_b32_e64 v53, v53, v151, s[60:61]                 // 0000000076E8: D1000035 00F32F35
	s_lshl_b32 s60, s60, 1                                     // 0000000076F0: 8E3C813C
	s_lshl_b32 s61, s61, 1                                     // 0000000076F4: 8E3D813D
	s_and_b32 s60, 0xfffeffff, s60                             // 0000000076F8: 863C3CFF FFFEFFFF
	s_and_b32 s61, 0xfffeffff, s61                             // 000000007700: 863D3DFF FFFEFFFF
	v_cndmask_b32_e64 v54, v54, v151, s[60:61]                 // 000000007708: D1000036 00F32F36
	s_lshl_b32 s60, s60, 1                                     // 000000007710: 8E3C813C
	s_lshl_b32 s61, s61, 1                                     // 000000007714: 8E3D813D
	s_and_b32 s60, 0xfffeffff, s60                             // 000000007718: 863C3CFF FFFEFFFF
	s_and_b32 s61, 0xfffeffff, s61                             // 000000007720: 863D3DFF FFFEFFFF
	v_cndmask_b32_e64 v55, v55, v151, s[60:61]                 // 000000007728: D1000037 00F32F37
	s_branch label_0E6D                                        // 000000007730: BF820020

0000000000007734 <label_0E4D>:
	v_mov_b32_e32 v52, v151                                    // 000000007734: 7E680397
	v_mov_b32_e32 v53, v151                                    // 000000007738: 7E6A0397
	v_mov_b32_e32 v54, v151                                    // 00000000773C: 7E6C0397
	v_mov_b32_e32 v55, v151                                    // 000000007740: 7E6E0397
	s_branch label_0E6D                                        // 000000007744: BF82001B

0000000000007748 <label_0E52>:
	v_cndmask_b32_e64 v56, v56, v151, s[60:61]                 // 000000007748: D1000038 00F32F38
	s_lshl_b32 s60, s60, 1                                     // 000000007750: 8E3C813C
	s_lshl_b32 s61, s61, 1                                     // 000000007754: 8E3D813D
	s_and_b32 s60, 0xfffeffff, s60                             // 000000007758: 863C3CFF FFFEFFFF
	s_and_b32 s61, 0xfffeffff, s61                             // 000000007760: 863D3DFF FFFEFFFF
	v_cndmask_b32_e64 v57, v57, v151, s[60:61]                 // 000000007768: D1000039 00F32F39
	s_lshl_b32 s60, s60, 1                                     // 000000007770: 8E3C813C
	s_lshl_b32 s61, s61, 1                                     // 000000007774: 8E3D813D
	s_and_b32 s60, 0xfffeffff, s60                             // 000000007778: 863C3CFF FFFEFFFF
	s_and_b32 s61, 0xfffeffff, s61                             // 000000007780: 863D3DFF FFFEFFFF
	v_cndmask_b32_e64 v58, v58, v151, s[60:61]                 // 000000007788: D100003A 00F32F3A
	s_lshl_b32 s60, s60, 1                                     // 000000007790: 8E3C813C
	s_lshl_b32 s61, s61, 1                                     // 000000007794: 8E3D813D
	s_and_b32 s60, 0xfffeffff, s60                             // 000000007798: 863C3CFF FFFEFFFF
	s_and_b32 s61, 0xfffeffff, s61                             // 0000000077A0: 863D3DFF FFFEFFFF
	v_cndmask_b32_e64 v59, v59, v151, s[60:61]                 // 0000000077A8: D100003B 00F32F3B
	s_branch label_0E72                                        // 0000000077B0: BF820005

00000000000077b4 <label_0E6D>:
	v_mov_b32_e32 v56, v151                                    // 0000000077B4: 7E700397
	v_mov_b32_e32 v57, v151                                    // 0000000077B8: 7E720397
	v_mov_b32_e32 v58, v151                                    // 0000000077BC: 7E740397
	v_mov_b32_e32 v59, v151                                    // 0000000077C0: 7E760397
	s_branch label_0E72                                        // 0000000077C4: BF820000

00000000000077c8 <label_0E72>:
	s_addk_i32 s74, 0x1                                        // 0000000077C8: B74A0001
	s_waitcnt lgkmcnt(8)                                       // 0000000077CC: BF8CC87F
	s_barrier                                                  // 0000000077D0: BF8A0000
	v_mfma_f32_16x16x16_bf16 v[72:75], v[92:93], a[96:97], 0   // 0000000077D4: D3E10048 1202C15C
	ds_read_b128 a[144:147], v14 offset:4352                   // 0000000077DC: DBFE1100 9000000E
	ds_read_b128 a[148:151], v14 offset:4864                   // 0000000077E4: DBFE1300 9400000E
	v_mfma_f32_16x16x16_bf16 v[72:75], v[94:95], a[98:99], v[72:75]// 0000000077EC: D3E10048 1522C55E
	v_fma_f32 v48, v48, s57, -v124                             // 0000000077F4: D1CB0030 85F07330
	v_fma_f32 v49, v49, s57, -v125                             // 0000000077FC: D1CB0031 85F47331
	v_fma_f32 v50, v50, s57, -v126                             // 000000007804: D1CB0032 85F87332
	v_mfma_f32_16x16x16_bf16 v[72:75], v[96:97], a[100:101], v[72:75]// 00000000780C: D3E10048 1522C960
	v_fma_f32 v51, v51, s57, -v127                             // 000000007814: D1CB0033 85FC7333
	v_fma_f32 v52, v52, s57, -v124                             // 00000000781C: D1CB0034 85F07334
	v_fma_f32 v53, v53, s57, -v125                             // 000000007824: D1CB0035 85F47335
	v_mfma_f32_16x16x16_bf16 v[72:75], v[98:99], a[102:103], v[72:75]// 00000000782C: D3E10048 1522CD62
	v_fma_f32 v54, v54, s57, -v126                             // 000000007834: D1CB0036 85F87336
	v_fma_f32 v55, v55, s57, -v127                             // 00000000783C: D1CB0037 85FC7337
	v_fma_f32 v56, v56, s57, -v124                             // 000000007844: D1CB0038 85F07338
	v_mfma_f32_16x16x16_bf16 v[72:75], v[100:101], a[104:105], v[72:75]// 00000000784C: D3E10048 1522D164
	ds_read_b128 a[152:155], v14 offset:6528                   // 000000007854: DBFE1980 9800000E
	ds_read_b128 a[156:159], v14 offset:7040                   // 00000000785C: DBFE1B80 9C00000E
	v_mfma_f32_16x16x16_bf16 v[72:75], v[102:103], a[106:107], v[72:75]// 000000007864: D3E10048 1522D566
	v_fma_f32 v57, v57, s57, -v125                             // 00000000786C: D1CB0039 85F47339
	v_fma_f32 v58, v58, s57, -v126                             // 000000007874: D1CB003A 85F8733A
	v_fma_f32 v59, v59, s57, -v127                             // 00000000787C: D1CB003B 85FC733B
	v_mfma_f32_16x16x16_bf16 v[72:75], v[104:105], a[108:109], v[72:75]// 000000007884: D3E10048 1522D968
	v_exp_f32_e32 v48, v48                                     // 00000000788C: 7E604130
	v_mfma_f32_16x16x16_bf16 v[72:75], v[106:107], a[110:111], v[72:75]// 000000007890: D3E10048 1522DD6A
	v_exp_f32_e32 v49, v49                                     // 000000007898: 7E624131
	v_mfma_f32_16x16x16_bf16 v[76:79], v[92:93], a[112:113], 0 // 00000000789C: D3E1004C 1202E15C
	ds_read_b32 v136, v21 offset:24320                         // 0000000078A4: D86C5F00 88000015
	ds_read_b32 v137, v21 offset:24336                         // 0000000078AC: D86C5F10 89000015
	v_mfma_f32_16x16x16_bf16 v[76:79], v[94:95], a[114:115], v[76:79]// 0000000078B4: D3E1004C 1532E55E
	v_exp_f32_e32 v50, v50                                     // 0000000078BC: 7E644132
	v_mfma_f32_16x16x16_bf16 v[76:79], v[96:97], a[116:117], v[76:79]// 0000000078C0: D3E1004C 1532E960
	ds_read_b32 v138, v21 offset:26496                         // 0000000078C8: D86C6780 8A000015
	ds_read_b32 v139, v21 offset:26512                         // 0000000078D0: D86C6790 8B000015
	v_mfma_f32_16x16x16_bf16 v[76:79], v[98:99], a[118:119], v[76:79]// 0000000078D8: D3E1004C 1532ED62
	v_exp_f32_e32 v51, v51                                     // 0000000078E0: 7E664133
	v_mfma_f32_16x16x16_bf16 v[76:79], v[100:101], a[120:121], v[76:79]// 0000000078E4: D3E1004C 1532F164
	v_exp_f32_e32 v52, v52                                     // 0000000078EC: 7E684134
	v_mfma_f32_16x16x16_bf16 v[76:79], v[102:103], a[122:123], v[76:79]// 0000000078F0: D3E1004C 1532F566
	v_exp_f32_e32 v53, v53                                     // 0000000078F8: 7E6A4135
	v_mfma_f32_16x16x16_bf16 v[76:79], v[104:105], a[124:125], v[76:79]// 0000000078FC: D3E1004C 1532F968
	v_exp_f32_e32 v54, v54                                     // 000000007904: 7E6C4136
	v_mfma_f32_16x16x16_bf16 v[76:79], v[106:107], a[126:127], v[76:79]// 000000007908: D3E1004C 1532FD6A
	v_exp_f32_e32 v55, v55                                     // 000000007910: 7E6E4137
	v_mfma_f32_16x16x16_bf16 v[80:83], v[92:93], a[128:129], 0 // 000000007914: D3E10050 1203015C
	v_exp_f32_e32 v56, v56                                     // 00000000791C: 7E704138
	v_mfma_f32_16x16x16_bf16 v[80:83], v[94:95], a[130:131], v[80:83]// 000000007920: D3E10050 1543055E
	v_exp_f32_e32 v57, v57                                     // 000000007928: 7E724139
	v_mfma_f32_16x16x16_bf16 v[80:83], v[96:97], a[132:133], v[80:83]// 00000000792C: D3E10050 15430960
	v_exp_f32_e32 v58, v58                                     // 000000007934: 7E74413A
	v_mfma_f32_16x16x16_bf16 v[80:83], v[98:99], a[134:135], v[80:83]// 000000007938: D3E10050 15430D62
	v_exp_f32_e32 v59, v59                                     // 000000007940: 7E76413B
	v_mfma_f32_16x16x16_bf16 v[80:83], v[100:101], a[136:137], v[80:83]// 000000007944: D3E10050 15431164
	v_cmp_u_f32_e64 s[78:79], v48, v48                         // 00000000794C: D048004E 00026130
	v_bfe_u32 v248, v48, 16, 1                                 // 000000007954: D1C800F8 02052130
	v_add3_u32 v248, v48, v248, v251                           // 00000000795C: D1FF00F8 07EFF130
	v_cndmask_b32_e64 v28, v248, v250, s[78:79]                // 000000007964: D100001C 013BF5F8
	v_lshrrev_b32_e32 v28, 16, v28                             // 00000000796C: 20383890
	v_cmp_u_f32_e64 s[78:79], v49, v49                         // 000000007970: D048004E 00026331
	v_bfe_u32 v248, v49, 16, 1                                 // 000000007978: D1C800F8 02052131
	v_add3_u32 v248, v49, v248, v251                           // 000000007980: D1FF00F8 07EFF131
	v_cndmask_b32_e64 v29, v248, v250, s[78:79]                // 000000007988: D100001D 013BF5F8
	v_and_or_b32 v144, v29, v249, v28                          // 000000007990: D2010090 0473F31D
	v_cmp_u_f32_e64 s[78:79], v50, v50                         // 000000007998: D048004E 00026532
	v_bfe_u32 v248, v50, 16, 1                                 // 0000000079A0: D1C800F8 02052132
	v_add3_u32 v248, v50, v248, v251                           // 0000000079A8: D1FF00F8 07EFF132
	v_cndmask_b32_e64 v28, v248, v250, s[78:79]                // 0000000079B0: D100001C 013BF5F8
	v_lshrrev_b32_e32 v28, 16, v28                             // 0000000079B8: 20383890
	v_cmp_u_f32_e64 s[78:79], v51, v51                         // 0000000079BC: D048004E 00026733
	v_bfe_u32 v248, v51, 16, 1                                 // 0000000079C4: D1C800F8 02052133
	v_add3_u32 v248, v51, v248, v251                           // 0000000079CC: D1FF00F8 07EFF133
	v_cndmask_b32_e64 v29, v248, v250, s[78:79]                // 0000000079D4: D100001D 013BF5F8
	v_and_or_b32 v145, v29, v249, v28                          // 0000000079DC: D2010091 0473F31D
	v_cmp_u_f32_e64 s[78:79], v52, v52                         // 0000000079E4: D048004E 00026934
	v_bfe_u32 v248, v52, 16, 1                                 // 0000000079EC: D1C800F8 02052134
	v_add3_u32 v248, v52, v248, v251                           // 0000000079F4: D1FF00F8 07EFF134
	v_cndmask_b32_e64 v28, v248, v250, s[78:79]                // 0000000079FC: D100001C 013BF5F8
	v_lshrrev_b32_e32 v28, 16, v28                             // 000000007A04: 20383890
	v_cmp_u_f32_e64 s[78:79], v53, v53                         // 000000007A08: D048004E 00026B35
	v_bfe_u32 v248, v53, 16, 1                                 // 000000007A10: D1C800F8 02052135
	v_add3_u32 v248, v53, v248, v251                           // 000000007A18: D1FF00F8 07EFF135
	v_cndmask_b32_e64 v29, v248, v250, s[78:79]                // 000000007A20: D100001D 013BF5F8
	v_and_or_b32 v146, v29, v249, v28                          // 000000007A28: D2010092 0473F31D
	v_mfma_f32_16x16x16_bf16 v[80:83], v[102:103], a[138:139], v[80:83]// 000000007A30: D3E10050 15431566
	v_cmp_u_f32_e64 s[78:79], v54, v54                         // 000000007A38: D048004E 00026D36
	v_bfe_u32 v248, v54, 16, 1                                 // 000000007A40: D1C800F8 02052136
	v_add3_u32 v248, v54, v248, v251                           // 000000007A48: D1FF00F8 07EFF136
	v_cndmask_b32_e64 v28, v248, v250, s[78:79]                // 000000007A50: D100001C 013BF5F8
	v_lshrrev_b32_e32 v28, 16, v28                             // 000000007A58: 20383890
	v_cmp_u_f32_e64 s[78:79], v55, v55                         // 000000007A5C: D048004E 00026F37
	v_bfe_u32 v248, v55, 16, 1                                 // 000000007A64: D1C800F8 02052137
	v_add3_u32 v248, v55, v248, v251                           // 000000007A6C: D1FF00F8 07EFF137
	v_cndmask_b32_e64 v29, v248, v250, s[78:79]                // 000000007A74: D100001D 013BF5F8
	v_and_or_b32 v147, v29, v249, v28                          // 000000007A7C: D2010093 0473F31D
	v_cmp_u_f32_e64 s[78:79], v56, v56                         // 000000007A84: D048004E 00027138
	v_bfe_u32 v248, v56, 16, 1                                 // 000000007A8C: D1C800F8 02052138
	v_add3_u32 v248, v56, v248, v251                           // 000000007A94: D1FF00F8 07EFF138
	v_cndmask_b32_e64 v28, v248, v250, s[78:79]                // 000000007A9C: D100001C 013BF5F8
	v_lshrrev_b32_e32 v28, 16, v28                             // 000000007AA4: 20383890
	v_cmp_u_f32_e64 s[78:79], v57, v57                         // 000000007AA8: D048004E 00027339
	v_bfe_u32 v248, v57, 16, 1                                 // 000000007AB0: D1C800F8 02052139
	v_add3_u32 v248, v57, v248, v251                           // 000000007AB8: D1FF00F8 07EFF139
	v_cndmask_b32_e64 v29, v248, v250, s[78:79]                // 000000007AC0: D100001D 013BF5F8
	v_and_or_b32 v148, v29, v249, v28                          // 000000007AC8: D2010094 0473F31D
	v_cmp_u_f32_e64 s[78:79], v58, v58                         // 000000007AD0: D048004E 0002753A
	v_bfe_u32 v248, v58, 16, 1                                 // 000000007AD8: D1C800F8 0205213A
	v_add3_u32 v248, v58, v248, v251                           // 000000007AE0: D1FF00F8 07EFF13A
	v_cndmask_b32_e64 v28, v248, v250, s[78:79]                // 000000007AE8: D100001C 013BF5F8
	v_lshrrev_b32_e32 v28, 16, v28                             // 000000007AF0: 20383890
	v_cmp_u_f32_e64 s[78:79], v59, v59                         // 000000007AF4: D048004E 0002773B
	v_bfe_u32 v248, v59, 16, 1                                 // 000000007AFC: D1C800F8 0205213B
	v_add3_u32 v248, v59, v248, v251                           // 000000007B04: D1FF00F8 07EFF13B
	v_cndmask_b32_e64 v29, v248, v250, s[78:79]                // 000000007B0C: D100001D 013BF5F8
	v_and_or_b32 v149, v29, v249, v28                          // 000000007B14: D2010095 0473F31D
	v_mfma_f32_16x16x16_bf16 v[80:83], v[104:105], a[140:141], v[80:83]// 000000007B1C: D3E10050 15431968
	s_add_u32 s32, s66, s32                                    // 000000007B24: 80202042
	s_addc_u32 s33, 0, s33                                     // 000000007B28: 82212180
	v_mfma_f32_16x16x16_bf16 v[80:83], v[106:107], a[142:143], v[80:83]// 000000007B2C: D3E10050 15431D6A
	s_waitcnt lgkmcnt(0)                                       // 000000007B34: BF8CC07F
	s_barrier                                                  // 000000007B38: BF8A0000
	v_mfma_f32_16x16x16_bf16 v[152:155], v[108:109], v[144:145], v[152:155]// 000000007B3C: D3E10098 0663216C
	v_subrev_f32_dpp v72, v150, v72 quad_perm:[0,0,0,0] row_mask:0xf bank_mask:0xf// 000000007B44: 069090FA FF000096
	v_subrev_f32_dpp v73, v150, v73 quad_perm:[1,1,1,1] row_mask:0xf bank_mask:0xf// 000000007B4C: 069292FA FF005596
	v_subrev_f32_dpp v74, v150, v74 quad_perm:[2,2,2,2] row_mask:0xf bank_mask:0xf// 000000007B54: 069494FA FF00AA96
	v_mfma_f32_16x16x16_bf16 v[156:159], v[110:111], v[144:145], v[156:159]// 000000007B5C: D3E1009C 0673216E
	v_subrev_f32_dpp v75, v150, v75 quad_perm:[3,3,3,3] row_mask:0xf bank_mask:0xf// 000000007B64: 069696FA FF00FF96
	v_subrev_f32_dpp v76, v150, v76 quad_perm:[0,0,0,0] row_mask:0xf bank_mask:0xf// 000000007B6C: 069898FA FF000096
	v_subrev_f32_dpp v77, v150, v77 quad_perm:[1,1,1,1] row_mask:0xf bank_mask:0xf// 000000007B74: 069A9AFA FF005596
	v_mfma_f32_16x16x16_bf16 v[160:163], v[112:113], v[144:145], v[160:163]// 000000007B7C: D3E100A0 06832170
	v_mul_f32_e32 v72, v48, v72                                // 000000007B84: 0A909130
	v_mul_f32_e32 v73, v49, v73                                // 000000007B88: 0A929331
	v_mul_f32_e32 v74, v50, v74                                // 000000007B8C: 0A949532
	v_mfma_f32_16x16x16_bf16 v[164:167], v[114:115], v[144:145], v[164:167]// 000000007B90: D3E100A4 06932172
	v_mul_f32_e32 v75, v51, v75                                // 000000007B98: 0A969733
	v_mul_f32_e32 v76, v52, v76                                // 000000007B9C: 0A989934
	v_mul_f32_e32 v77, v53, v77                                // 000000007BA0: 0A9A9B35
	v_mfma_f32_16x16x16_bf16 v[168:171], v[116:117], v[144:145], v[168:171]// 000000007BA4: D3E100A8 06A32174
	v_cmp_u_f32_e64 s[78:79], v72, v72                         // 000000007BAC: D048004E 00029148
	v_bfe_u32 v248, v72, 16, 1                                 // 000000007BB4: D1C800F8 02052148
	v_add3_u32 v248, v72, v248, v251                           // 000000007BBC: D1FF00F8 07EFF148
	v_cndmask_b32_e64 v28, v248, v250, s[78:79]                // 000000007BC4: D100001C 013BF5F8
	v_lshrrev_b32_e32 v28, 16, v28                             // 000000007BCC: 20383890
	v_cmp_u_f32_e64 s[78:79], v73, v73                         // 000000007BD0: D048004E 00029349
	v_bfe_u32 v248, v73, 16, 1                                 // 000000007BD8: D1C800F8 02052149
	v_add3_u32 v248, v73, v248, v251                           // 000000007BE0: D1FF00F8 07EFF149
	v_cndmask_b32_e64 v29, v248, v250, s[78:79]                // 000000007BE8: D100001D 013BF5F8
	v_and_or_b32 v72, v29, v249, v28                           // 000000007BF0: D2010048 0473F31D
	v_cmp_u_f32_e64 s[78:79], v74, v74                         // 000000007BF8: D048004E 0002954A
	v_bfe_u32 v248, v74, 16, 1                                 // 000000007C00: D1C800F8 0205214A
	v_add3_u32 v248, v74, v248, v251                           // 000000007C08: D1FF00F8 07EFF14A
	v_cndmask_b32_e64 v28, v248, v250, s[78:79]                // 000000007C10: D100001C 013BF5F8
	v_lshrrev_b32_e32 v28, 16, v28                             // 000000007C18: 20383890
	v_cmp_u_f32_e64 s[78:79], v75, v75                         // 000000007C1C: D048004E 0002974B
	v_bfe_u32 v248, v75, 16, 1                                 // 000000007C24: D1C800F8 0205214B
	v_add3_u32 v248, v75, v248, v251                           // 000000007C2C: D1FF00F8 07EFF14B
	v_cndmask_b32_e64 v29, v248, v250, s[78:79]                // 000000007C34: D100001D 013BF5F8
	v_and_or_b32 v73, v29, v249, v28                           // 000000007C3C: D2010049 0473F31D
	v_cmp_u_f32_e64 s[78:79], v76, v76                         // 000000007C44: D048004E 0002994C
	v_bfe_u32 v248, v76, 16, 1                                 // 000000007C4C: D1C800F8 0205214C
	v_add3_u32 v248, v76, v248, v251                           // 000000007C54: D1FF00F8 07EFF14C
	v_cndmask_b32_e64 v28, v248, v250, s[78:79]                // 000000007C5C: D100001C 013BF5F8
	v_lshrrev_b32_e32 v28, 16, v28                             // 000000007C64: 20383890
	v_cmp_u_f32_e64 s[78:79], v77, v77                         // 000000007C68: D048004E 00029B4D
	v_bfe_u32 v248, v77, 16, 1                                 // 000000007C70: D1C800F8 0205214D
	v_add3_u32 v248, v77, v248, v251                           // 000000007C78: D1FF00F8 07EFF14D
	v_cndmask_b32_e64 v29, v248, v250, s[78:79]                // 000000007C80: D100001D 013BF5F8
	v_and_or_b32 v74, v29, v249, v28                           // 000000007C88: D201004A 0473F31D
	v_mfma_f32_16x16x16_bf16 v[172:175], v[118:119], v[144:145], v[172:175]// 000000007C90: D3E100AC 06B32176
	v_mov_b32_dpp v18, v72 quad_perm:[1,0,3,2] row_mask:0xf bank_mask:0xf// 000000007C98: 7E2402FA FF00B148
	v_perm_b32 v48, v18, v72, v17                              // 000000007CA0: D1ED0030 04469112
	v_mov_b32_dpp v18, v73 quad_perm:[1,0,3,2] row_mask:0xf bank_mask:0xf// 000000007CA8: 7E2402FA FF00B149
	v_mfma_f32_16x16x16_bf16 v[176:179], v[120:121], v[144:145], v[176:179]// 000000007CB0: D3E100B0 06C32178
	v_perm_b32 v49, v18, v73, v17                              // 000000007CB8: D1ED0031 04469312
	v_mov_b32_dpp v18, v74 quad_perm:[1,0,3,2] row_mask:0xf bank_mask:0xf// 000000007CC0: 7E2402FA FF00B14A
	v_perm_b32 v50, v18, v74, v17                              // 000000007CC8: D1ED0032 04469512
	v_mfma_f32_16x16x16_bf16 v[180:183], v[122:123], v[144:145], v[180:183]// 000000007CD0: D3E100B4 06D3217A
	ds_write_b32 v20, v48 offset:17408                         // 000000007CD8: D81A4400 00003014
	v_mfma_f32_16x16x16_bf16 v[184:187], v[108:109], v[146:147], v[184:187]// 000000007CE0: D3E100B8 06E3256C
	v_subrev_f32_dpp v78, v150, v78 quad_perm:[2,2,2,2] row_mask:0xf bank_mask:0xf// 000000007CE8: 069C9CFA FF00AA96
	v_subrev_f32_dpp v79, v150, v79 quad_perm:[3,3,3,3] row_mask:0xf bank_mask:0xf// 000000007CF0: 069E9EFA FF00FF96
	v_subrev_f32_dpp v80, v150, v80 quad_perm:[0,0,0,0] row_mask:0xf bank_mask:0xf// 000000007CF8: 06A0A0FA FF000096
	v_mfma_f32_16x16x16_bf16 v[188:191], v[110:111], v[146:147], v[188:191]// 000000007D00: D3E100BC 06F3256E
	ds_write_b32 v20, v49 offset:17952                         // 000000007D08: D81A4620 00003114
	v_mfma_f32_16x16x16_bf16 v[192:195], v[112:113], v[146:147], v[192:195]// 000000007D10: D3E100C0 07032570
	v_subrev_f32_dpp v81, v150, v81 quad_perm:[1,1,1,1] row_mask:0xf bank_mask:0xf// 000000007D18: 06A2A2FA FF005596
	v_subrev_f32_dpp v82, v150, v82 quad_perm:[2,2,2,2] row_mask:0xf bank_mask:0xf// 000000007D20: 06A4A4FA FF00AA96
	v_subrev_f32_dpp v83, v150, v83 quad_perm:[3,3,3,3] row_mask:0xf bank_mask:0xf// 000000007D28: 06A6A6FA FF00FF96
	v_mfma_f32_16x16x16_bf16 v[196:199], v[114:115], v[146:147], v[196:199]// 000000007D30: D3E100C4 07132572
	ds_write_b32 v20, v50 offset:19712                         // 000000007D38: D81A4D00 00003214
	v_mfma_f32_16x16x16_bf16 v[200:203], v[116:117], v[146:147], v[200:203]// 000000007D40: D3E100C8 07232574
	v_mul_f32_e32 v78, v54, v78                                // 000000007D48: 0A9C9D36
	v_mul_f32_e32 v79, v55, v79                                // 000000007D4C: 0A9E9F37
	v_mul_f32_e32 v80, v56, v80                                // 000000007D50: 0AA0A138
	v_mfma_f32_16x16x16_bf16 v[204:207], v[118:119], v[146:147], v[204:207]// 000000007D54: D3E100CC 07332576
	v_mul_f32_e32 v81, v57, v81                                // 000000007D5C: 0AA2A339
	v_mul_f32_e32 v82, v58, v82                                // 000000007D60: 0AA4A53A
	v_mul_f32_e32 v83, v59, v83                                // 000000007D64: 0AA6A73B
	v_mfma_f32_16x16x16_bf16 v[208:211], v[120:121], v[146:147], v[208:211]// 000000007D68: D3E100D0 07432578
	v_cmp_u_f32_e64 s[78:79], v78, v78                         // 000000007D70: D048004E 00029D4E
	v_bfe_u32 v248, v78, 16, 1                                 // 000000007D78: D1C800F8 0205214E
	v_add3_u32 v248, v78, v248, v251                           // 000000007D80: D1FF00F8 07EFF14E
	v_cndmask_b32_e64 v28, v248, v250, s[78:79]                // 000000007D88: D100001C 013BF5F8
	v_lshrrev_b32_e32 v28, 16, v28                             // 000000007D90: 20383890
	v_cmp_u_f32_e64 s[78:79], v79, v79                         // 000000007D94: D048004E 00029F4F
	v_bfe_u32 v248, v79, 16, 1                                 // 000000007D9C: D1C800F8 0205214F
	v_add3_u32 v248, v79, v248, v251                           // 000000007DA4: D1FF00F8 07EFF14F
	v_cndmask_b32_e64 v29, v248, v250, s[78:79]                // 000000007DAC: D100001D 013BF5F8
	v_and_or_b32 v75, v29, v249, v28                           // 000000007DB4: D201004B 0473F31D
	v_cmp_u_f32_e64 s[78:79], v80, v80                         // 000000007DBC: D048004E 0002A150
	v_bfe_u32 v248, v80, 16, 1                                 // 000000007DC4: D1C800F8 02052150
	v_add3_u32 v248, v80, v248, v251                           // 000000007DCC: D1FF00F8 07EFF150
	v_cndmask_b32_e64 v28, v248, v250, s[78:79]                // 000000007DD4: D100001C 013BF5F8
	v_lshrrev_b32_e32 v28, 16, v28                             // 000000007DDC: 20383890
	v_cmp_u_f32_e64 s[78:79], v81, v81                         // 000000007DE0: D048004E 0002A351
	v_bfe_u32 v248, v81, 16, 1                                 // 000000007DE8: D1C800F8 02052151
	v_add3_u32 v248, v81, v248, v251                           // 000000007DF0: D1FF00F8 07EFF151
	v_cndmask_b32_e64 v29, v248, v250, s[78:79]                // 000000007DF8: D100001D 013BF5F8
	v_and_or_b32 v76, v29, v249, v28                           // 000000007E00: D201004C 0473F31D
	v_cmp_u_f32_e64 s[78:79], v82, v82                         // 000000007E08: D048004E 0002A552
	v_bfe_u32 v248, v82, 16, 1                                 // 000000007E10: D1C800F8 02052152
	v_add3_u32 v248, v82, v248, v251                           // 000000007E18: D1FF00F8 07EFF152
	v_cndmask_b32_e64 v28, v248, v250, s[78:79]                // 000000007E20: D100001C 013BF5F8
	v_lshrrev_b32_e32 v28, 16, v28                             // 000000007E28: 20383890
	v_cmp_u_f32_e64 s[78:79], v83, v83                         // 000000007E2C: D048004E 0002A753
	v_bfe_u32 v248, v83, 16, 1                                 // 000000007E34: D1C800F8 02052153
	v_add3_u32 v248, v83, v248, v251                           // 000000007E3C: D1FF00F8 07EFF153
	v_cndmask_b32_e64 v29, v248, v250, s[78:79]                // 000000007E44: D100001D 013BF5F8
	v_and_or_b32 v77, v29, v249, v28                           // 000000007E4C: D201004D 0473F31D
	v_mfma_f32_16x16x16_bf16 v[212:215], v[122:123], v[146:147], v[212:215]// 000000007E54: D3E100D4 0753257A
	v_mov_b32_dpp v18, v75 quad_perm:[1,0,3,2] row_mask:0xf bank_mask:0xf// 000000007E5C: 7E2402FA FF00B14B
	v_perm_b32 v51, v18, v75, v17                              // 000000007E64: D1ED0033 04469712
	v_mov_b32_dpp v18, v76 quad_perm:[1,0,3,2] row_mask:0xf bank_mask:0xf// 000000007E6C: 7E2402FA FF00B14C
	v_mfma_f32_16x16x16_bf16 v[216:219], v[108:109], v[148:149], v[216:219]// 000000007E74: D3E100D8 0763296C
	v_perm_b32 v52, v18, v76, v17                              // 000000007E7C: D1ED0034 04469912
	v_mov_b32_dpp v18, v77 quad_perm:[1,0,3,2] row_mask:0xf bank_mask:0xf// 000000007E84: 7E2402FA FF00B14D
	v_perm_b32 v53, v18, v77, v17                              // 000000007E8C: D1ED0035 04469B12
	v_mfma_f32_16x16x16_bf16 v[220:223], v[110:111], v[148:149], v[220:223]// 000000007E94: D3E100DC 0773296E
	ds_write_b32 v20, v51 offset:20256                         // 000000007E9C: D81A4F20 00003314
	v_mfma_f32_16x16x16_bf16 v[224:227], v[112:113], v[148:149], v[224:227]// 000000007EA4: D3E100E0 07832970
	v_mfma_f32_16x16x16_bf16 v[228:231], v[114:115], v[148:149], v[228:231]// 000000007EAC: D3E100E4 07932972
	ds_write_b32 v20, v52 offset:22016                         // 000000007EB4: D81A5600 00003414
	ds_write_b32 v20, v53 offset:22560                         // 000000007EBC: D81A5820 00003514
	v_mfma_f32_16x16x16_bf16 v[232:235], v[116:117], v[148:149], v[232:235]// 000000007EC4: D3E100E8 07A32974
	v_mfma_f32_16x16x16_bf16 v[236:239], v[118:119], v[148:149], v[236:239]// 000000007ECC: D3E100EC 07B32976
	ds_write_b32 v15, v84 offset:4352                          // 000000007ED4: D81A1100 0000540F
	ds_write_b32 v15, v85 offset:5408                          // 000000007EDC: D81A1520 0000550F
	v_mfma_f32_16x16x16_bf16 v[240:243], v[120:121], v[148:149], v[240:243]// 000000007EE4: D3E100F0 07C32978
	s_nop 0                                                    // 000000007EEC: BF800000
	s_nop 0                                                    // 000000007EF0: BF800000
	s_nop 0                                                    // 000000007EF4: BF800000
	v_mfma_f32_16x16x16_bf16 v[244:247], v[122:123], v[148:149], v[244:247]// 000000007EF8: D3E100F4 07D3297A
	ds_write_b32 v15, v86 offset:4480                          // 000000007F00: D81A1180 0000560F
	ds_write_b32 v15, v87 offset:5536                          // 000000007F08: D81A15A0 0000570F
	s_barrier                                                  // 000000007F10: BF8A0000
	v_mfma_f32_16x16x16_bf16 a[160:163], a[144:145], v[72:73], a[160:163]// 000000007F14: D3E180A0 0E829190
	global_atomic_pk_add_bf16 v6, v136, s[32:33]               // 000000007F1C: DD488000 00208806
	v_mfma_f32_16x16x16_bf16 a[164:167], a[146:147], v[72:73], a[164:167]// 000000007F24: D3E180A4 0E929192
	ds_read_b32 v124, v23 offset:50688                         // 000000007F2C: D86CC600 7C000017
	ds_read_b32 v150, v23 offset:50944                         // 000000007F34: D86CC700 96000017
	v_mfma_f32_16x16x16_bf16 a[168:171], a[148:149], v[72:73], a[168:171]// 000000007F3C: D3E180A8 0EA29194
	s_waitcnt lgkmcnt(6)                                       // 000000007F44: BF8CC67F
	s_barrier                                                  // 000000007F48: BF8A0000
	v_mfma_f32_16x16x16_bf16 a[172:175], a[150:151], v[72:73], a[172:175]// 000000007F4C: D3E180AC 0EB29196
	ds_read_b128 v[48:51], v19 offset:17408                    // 000000007F54: D9FE4400 30000013
	v_mfma_f32_16x16x16_bf16 a[176:179], a[152:153], v[72:73], a[176:179]// 000000007F5C: D3E180B0 0EC29198
	v_mfma_f32_16x16x16_bf16 a[180:183], a[154:155], v[72:73], a[180:183]// 000000007F64: D3E180B4 0ED2919A
	ds_read_b128 v[52:55], v19 offset:18560                    // 000000007F6C: D9FE4880 34000013
	v_mfma_f32_16x16x16_bf16 a[184:187], a[156:157], v[72:73], a[184:187]// 000000007F74: D3E180B8 0EE2919C
	global_atomic_pk_add_bf16 v8, v137, s[32:33]               // 000000007F7C: DD488000 00208908
	v_mfma_f32_16x16x16_bf16 a[188:191], a[158:159], v[72:73], a[188:191]// 000000007F84: D3E180BC 0EF2919E
	ds_read_b128 v[56:59], v19 offset:19712                    // 000000007F8C: D9FE4D00 38000013
	v_mfma_f32_16x16x16_bf16 a[192:195], a[144:145], v[74:75], a[192:195]// 000000007F94: D3E180C0 0F029590
	v_mfma_f32_16x16x16_bf16 a[196:199], a[146:147], v[74:75], a[196:199]// 000000007F9C: D3E180C4 0F129592
	ds_read_b128 v[60:63], v19 offset:20864                    // 000000007FA4: D9FE5180 3C000013
	v_mfma_f32_16x16x16_bf16 a[200:203], a[148:149], v[74:75], a[200:203]// 000000007FAC: D3E180C8 0F229594
	v_mfma_f32_16x16x16_bf16 a[204:207], a[150:151], v[74:75], a[204:207]// 000000007FB4: D3E180CC 0F329596
	ds_read_b128 v[64:67], v19 offset:22016                    // 000000007FBC: D9FE5600 40000013
	v_mfma_f32_16x16x16_bf16 a[208:211], a[152:153], v[74:75], a[208:211]// 000000007FC4: D3E180D0 0F429598
	s_mov_b64 exec, s[98:99]                                   // 000000007FCC: BEFE0162
	global_atomic_pk_add_bf16 v6, v138, s[32:33] offset:128    // 000000007FD0: DD488080 00208A06
	s_mov_b64 exec, s[92:93]                                   // 000000007FD8: BEFE015C
	v_mfma_f32_16x16x16_bf16 a[212:215], a[154:155], v[74:75], a[212:215]// 000000007FDC: D3E180D4 0F52959A
	ds_read_b128 v[68:71], v19 offset:23168                    // 000000007FE4: D9FE5A80 44000013
	v_mfma_f32_16x16x16_bf16 a[216:219], a[156:157], v[74:75], a[216:219]// 000000007FEC: D3E180D8 0F62959C
	v_mfma_f32_16x16x16_bf16 a[220:223], a[158:159], v[74:75], a[220:223]// 000000007FF4: D3E180DC 0F72959E
	ds_write_b32 v15, v88 offset:13056                         // 000000007FFC: D81A3300 0000580F
	v_mfma_f32_16x16x16_bf16 a[224:227], a[144:145], v[76:77], a[224:227]// 000000008004: D3E180E0 0F829990
	v_mfma_f32_16x16x16_bf16 a[228:231], a[146:147], v[76:77], a[228:231]// 00000000800C: D3E180E4 0F929992
	ds_write_b32 v15, v89 offset:14112                         // 000000008014: D81A3720 0000590F
	v_mfma_f32_16x16x16_bf16 a[232:235], a[148:149], v[76:77], a[232:235]// 00000000801C: D3E180E8 0FA29994
	s_mov_b64 exec, s[98:99]                                   // 000000008024: BEFE0162
	global_atomic_pk_add_bf16 v8, v139, s[32:33] offset:128    // 000000008028: DD488080 00208B08
	s_mov_b64 exec, s[92:93]                                   // 000000008030: BEFE015C
	v_mfma_f32_16x16x16_bf16 a[236:239], a[150:151], v[76:77], a[236:239]// 000000008034: D3E180EC 0FB29996
	ds_write_b32 v15, v90 offset:13184                         // 00000000803C: D81A3380 00005A0F
	v_mfma_f32_16x16x16_bf16 a[240:243], a[152:153], v[76:77], a[240:243]// 000000008044: D3E180F0 0FC29998
	v_mfma_f32_16x16x16_bf16 a[244:247], a[154:155], v[76:77], a[244:247]// 00000000804C: D3E180F4 0FD2999A
	ds_write_b32 v15, v91 offset:14240                         // 000000008054: D81A37A0 00005B0F
	v_mfma_f32_16x16x16_bf16 a[248:251], a[156:157], v[76:77], a[248:251]// 00000000805C: D3E180F8 0FE2999C
	v_mfma_f32_16x16x16_bf16 a[252:255], a[158:159], v[76:77], a[252:255]// 000000008064: D3E180FC 0FF2999E
	s_waitcnt vmcnt(4) lgkmcnt(4)                              // 00000000806C: BF8C0474
	s_barrier                                                  // 000000008070: BF8A0000
	v_mfma_f32_16x16x16_bf16 v[128:131], a[48:49], v[48:49], 0 // 000000008074: D3E10080 0A026130
	v_mul_f32_e32 v124, s49, v124                              // 00000000807C: 0AF8F831
	s_nop 0                                                    // 000000008080: BF800000
	v_mfma_f32_16x16x16_bf16 v[128:131], a[52:53], v[50:51], v[128:131]// 000000008084: D3E10080 0E026534
	ds_read_b128 a[144:147], v12                               // 00000000808C: DBFE0000 9000000C
	v_mov_b32_e32 v32, 0                                       // 000000008094: 7E400280
	s_mov_b64 exec, s[94:95]                                   // 000000008098: BEFE015E
	buffer_load_dword v32, v1, s[8:11], 0 idxen                // 00000000809C: E0502000 80022001
	s_mov_b64 exec, s[92:93]                                   // 0000000080A4: BEFE015C
	v_mfma_f32_16x16x16_bf16 v[128:131], a[56:57], v[52:53], v[128:131]// 0000000080A8: D3E10080 0E026938
	v_mfma_f32_16x16x16_bf16 v[128:131], a[60:61], v[54:55], v[128:131]// 0000000080B0: D3E10080 0E026D3C
	ds_read_b128 a[148:151], v12 offset:512                    // 0000000080B8: DBFE0200 9400000C
	v_mov_b32_e32 v33, 0                                       // 0000000080C0: 7E420280
	s_mov_b64 exec, s[94:95]                                   // 0000000080C4: BEFE015E
	buffer_load_dword v33, v2, s[8:11], 0 idxen                // 0000000080C8: E0502000 80022102
	s_mov_b64 exec, s[92:93]                                   // 0000000080D0: BEFE015C
	v_mfma_f32_16x16x16_bf16 v[128:131], a[64:65], v[56:57], v[128:131]// 0000000080D4: D3E10080 0E027140
	v_perm_b32 v84, v37, v36, s63                              // 0000000080DC: D1ED0054 00FE4925
	v_perm_b32 v85, v37, v36, s64                              // 0000000080E4: D1ED0055 01024925
	v_mfma_f32_16x16x16_bf16 v[128:131], a[68:69], v[58:59], v[128:131]// 0000000080EC: D3E10080 0E027544
	ds_read_b128 a[152:155], v12 offset:2176                   // 0000000080F4: DBFE0880 9800000C
	v_mov_b32_e32 v34, 0                                       // 0000000080FC: 7E440280
	s_mov_b64 exec, s[94:95]                                   // 000000008100: BEFE015E
	buffer_load_dword v34, v3, s[8:11], 0 idxen                // 000000008104: E0502000 80022203
	s_mov_b64 exec, s[92:93]                                   // 00000000810C: BEFE015C
	v_mfma_f32_16x16x16_bf16 v[128:131], a[72:73], v[60:61], v[128:131]// 000000008110: D3E10080 0E027948
	v_perm_b32 v86, v39, v38, s63                              // 000000008118: D1ED0056 00FE4D27
	v_perm_b32 v87, v39, v38, s64                              // 000000008120: D1ED0057 01024D27
	v_mfma_f32_16x16x16_bf16 v[128:131], a[76:77], v[62:63], v[128:131]// 000000008128: D3E10080 0E027D4C
	ds_read_b128 a[156:159], v12 offset:2688                   // 000000008130: DBFE0A80 9C00000C
	v_mov_b32_e32 v35, 0                                       // 000000008138: 7E460280
	s_mov_b64 exec, s[94:95]                                   // 00000000813C: BEFE015E
	buffer_load_dword v35, v4, s[8:11], 0 idxen                // 000000008140: E0502000 80022304
	s_mov_b64 exec, s[92:93]                                   // 000000008148: BEFE015C
	v_mfma_f32_16x16x16_bf16 v[128:131], a[80:81], v[64:65], v[128:131]// 00000000814C: D3E10080 0E028150
	v_perm_b32 v88, v45, v44, s63                              // 000000008154: D1ED0058 00FE592D
	v_perm_b32 v89, v45, v44, s64                              // 00000000815C: D1ED0059 0102592D
	v_mfma_f32_16x16x16_bf16 v[128:131], a[84:85], v[66:67], v[128:131]// 000000008164: D3E10080 0E028554
	ds_read_b128 v[92:95], v12 offset:8704                     // 00000000816C: D9FE2200 5C00000C
	v_mov_b32_e32 v40, 0                                       // 000000008174: 7E500280
	s_mov_b64 exec, s[94:95]                                   // 000000008178: BEFE015E
	buffer_load_dword v40, v1, s[20:23], 0 idxen               // 00000000817C: E0502000 80052801
	s_mov_b64 exec, s[92:93]                                   // 000000008184: BEFE015C
	v_mfma_f32_16x16x16_bf16 v[128:131], a[88:89], v[68:69], v[128:131]// 000000008188: D3E10080 0E028958
	v_perm_b32 v90, v47, v46, s63                              // 000000008190: D1ED005A 00FE5D2F
	v_perm_b32 v91, v47, v46, s64                              // 000000008198: D1ED005B 01025D2F
	v_mfma_f32_16x16x16_bf16 v[128:131], a[92:93], v[70:71], v[128:131]// 0000000081A0: D3E10080 0E028D5C
	ds_read_b128 v[96:99], v12 offset:9216                     // 0000000081A8: D9FE2400 6000000C
	v_mov_b32_e32 v41, 0                                       // 0000000081B0: 7E520280
	s_mov_b64 exec, s[94:95]                                   // 0000000081B4: BEFE015E
	buffer_load_dword v41, v2, s[20:23], 0 idxen               // 0000000081B8: E0502000 80052902
	s_mov_b64 exec, s[92:93]                                   // 0000000081C0: BEFE015C
	v_mfma_f32_16x16x16_bf16 v[132:135], a[50:51], v[48:49], 0 // 0000000081C4: D3E10084 0A026132
	v_mov_b32_dpp v127, v124 quad_perm:[3,3,3,3] row_mask:0xf bank_mask:0xf// 0000000081CC: 7EFE02FA FF00FF7C
	v_mov_b32_dpp v126, v124 quad_perm:[2,2,2,2] row_mask:0xf bank_mask:0xf// 0000000081D4: 7EFC02FA FF00AA7C
	v_mfma_f32_16x16x16_bf16 v[132:135], a[54:55], v[50:51], v[132:135]// 0000000081DC: D3E10084 0E126536
	ds_read_b128 v[100:103], v12 offset:10880                  // 0000000081E4: D9FE2A80 6400000C
	v_mov_b32_e32 v42, 0                                       // 0000000081EC: 7E540280
	s_mov_b64 exec, s[94:95]                                   // 0000000081F0: BEFE015E
	buffer_load_dword v42, v3, s[20:23], 0 idxen               // 0000000081F4: E0502000 80052A03
	s_mov_b64 exec, s[92:93]                                   // 0000000081FC: BEFE015C
	v_mfma_f32_16x16x16_bf16 v[132:135], a[58:59], v[52:53], v[132:135]// 000000008200: D3E10084 0E12693A
	v_mov_b32_dpp v125, v124 quad_perm:[1,1,1,1] row_mask:0xf bank_mask:0xf// 000000008208: 7EFA02FA FF00557C
	v_mov_b32_dpp v124, v124 quad_perm:[0,0,0,0] row_mask:0xf bank_mask:0xf// 000000008210: 7EF802FA FF00007C
	s_add_u32 s60, 64, s59                                     // 000000008218: 803C3BC0
	v_mfma_f32_16x16x16_bf16 v[132:135], a[62:63], v[54:55], v[132:135]// 00000000821C: D3E10084 0E126D3E
	ds_read_b128 v[104:107], v12 offset:11392                  // 000000008224: D9FE2C80 6800000C
	v_mov_b32_e32 v43, 0                                       // 00000000822C: 7E560280
	s_mov_b64 exec, s[94:95]                                   // 000000008230: BEFE015E
	buffer_load_dword v43, v4, s[20:23], 0 idxen               // 000000008234: E0502000 80052B04
	s_mov_b64 exec, s[92:93]                                   // 00000000823C: BEFE015C
	v_mfma_f32_16x16x16_bf16 v[132:135], a[66:67], v[56:57], v[132:135]// 000000008240: D3E10084 0E127142
	s_cmp_lt_u32 s60, s58                                      // 000000008248: BF0A3A3C
	s_cselect_b32 s68, s68, 0                                  // 00000000824C: 85448044
	s_cselect_b32 s69, s69, 0                                  // 000000008250: 85458045
	v_mfma_f32_16x16x16_bf16 v[132:135], a[70:71], v[58:59], v[132:135]// 000000008254: D3E10084 0E127546
	buffer_load_dword v11, s[24:27], 0 idxen lds               // 00000000825C: E0512000 8006000B
	v_mfma_f32_16x16x16_bf16 v[132:135], a[74:75], v[60:61], v[132:135]// 000000008264: D3E10084 0E12794A
	s_add_u32 s8, s68, s8                                      // 00000000826C: 80080844
	s_addc_u32 s9, 0, s9                                       // 000000008270: 82090980
	v_mfma_f32_16x16x16_bf16 v[132:135], a[78:79], v[62:63], v[132:135]// 000000008274: D3E10084 0E127D4E
	s_add_u32 s20, s68, s20                                    // 00000000827C: 80141444
	s_addc_u32 s21, 0, s21                                     // 000000008280: 82151580
	v_mfma_f32_16x16x16_bf16 v[132:135], a[82:83], v[64:65], v[132:135]// 000000008284: D3E10084 0E128152
	s_mov_b32 m0, s81                                          // 00000000828C: BEFC0051
	v_add_u32_e32 v11, s69, v11                                // 000000008290: 68161645
	v_mfma_f32_16x16x16_bf16 v[132:135], a[86:87], v[66:67], v[132:135]// 000000008294: D3E10084 0E128556
	s_cmp_ge_u32 s59, s73                                      // 00000000829C: BF09493B
	s_cselect_b32 s66, s67, s66                                // 0000000082A0: 85424243
	v_mfma_f32_16x16x16_bf16 v[132:135], a[90:91], v[68:69], v[132:135]// 0000000082A4: D3E10084 0E12895A
	s_addk_i32 s59, 0x10                                       // 0000000082AC: B73B0010
	s_nop 0                                                    // 0000000082B0: BF800000
	s_cmp_lt_i32 s59, s58                                      // 0000000082B4: BF043A3B
	v_mfma_f32_16x16x16_bf16 v[132:135], a[94:95], v[70:71], v[132:135]// 0000000082B8: D3E10084 0E128D5E
	s_cbranch_scc0 label_1132                                  // 0000000082C0: BF840001
	s_branch label_0981                                        // 0000000082C4: BF82F84F

00000000000082c8 <label_1132>:
	s_nop 0                                                    // 0000000082C8: BF800000
	s_nop 0                                                    // 0000000082CC: BF800000
	s_branch label_18E6                                        // 0000000082D0: BF8207B1

00000000000082d4 <label_1135>:
	s_waitcnt lgkmcnt(4)                                       // 0000000082D4: BF8CC47F
	s_barrier                                                  // 0000000082D8: BF8A0000
	v_mfma_f32_16x16x16_bf16 v[48:51], a[144:145], a[0:1], 0   // 0000000082DC: D3E10030 1A020190
	v_mul_f32_e32 v128, s48, v128                              // 0000000082E4: 0B010030
	v_mul_f32_e32 v129, s48, v129                              // 0000000082E8: 0B030230
	v_mfma_f32_16x16x16_bf16 v[48:51], a[146:147], a[2:3], v[48:51]// 0000000082EC: D3E10030 1CC20592
	ds_write_b32 v13, v44 offset:8704                          // 0000000082F4: D81A2200 00002C0D
	ds_write_b32 v13, v45 offset:9760                          // 0000000082FC: D81A2620 00002D0D
	v_mfma_f32_16x16x16_bf16 v[48:51], a[148:149], a[4:5], v[48:51]// 000000008304: D3E10030 1CC20994
	v_mul_f32_e32 v130, s48, v130                              // 00000000830C: 0B050430
	v_mul_f32_e32 v131, s48, v131                              // 000000008310: 0B070630
	v_mfma_f32_16x16x16_bf16 v[48:51], a[150:151], a[6:7], v[48:51]// 000000008314: D3E10030 1CC20D96
	ds_write_b32 v13, v46 offset:8832                          // 00000000831C: D81A2280 00002E0D
	ds_write_b32 v13, v47 offset:9888                          // 000000008324: D81A26A0 00002F0D
	v_mfma_f32_16x16x16_bf16 v[48:51], a[152:153], a[8:9], v[48:51]// 00000000832C: D3E10030 1CC21198
	v_mul_f32_e32 v132, s48, v132                              // 000000008334: 0B090830
	v_mul_f32_e32 v133, s48, v133                              // 000000008338: 0B0B0A30
	v_mfma_f32_16x16x16_bf16 v[48:51], a[154:155], a[10:11], v[48:51]// 00000000833C: D3E10030 1CC2159A
	v_mul_f32_e32 v134, s48, v134                              // 000000008344: 0B0D0C30
	v_mul_f32_e32 v135, s48, v135                              // 000000008348: 0B0F0E30
	v_mfma_f32_16x16x16_bf16 v[48:51], a[156:157], a[12:13], v[48:51]// 00000000834C: D3E10030 1CC2199C
	v_cmp_u_f32_e64 s[78:79], v128, v128                       // 000000008354: D048004E 00030180
	v_bfe_u32 v248, v128, 16, 1                                // 00000000835C: D1C800F8 02052180
	v_add3_u32 v248, v128, v248, v251                          // 000000008364: D1FF00F8 07EFF180
	v_cndmask_b32_e64 v28, v248, v250, s[78:79]                // 00000000836C: D100001C 013BF5F8
	v_lshrrev_b32_e32 v28, 16, v28                             // 000000008374: 20383890
	v_cmp_u_f32_e64 s[78:79], v129, v129                       // 000000008378: D048004E 00030381
	v_bfe_u32 v248, v129, 16, 1                                // 000000008380: D1C800F8 02052181
	v_add3_u32 v248, v129, v248, v251                          // 000000008388: D1FF00F8 07EFF181
	v_cndmask_b32_e64 v29, v248, v250, s[78:79]                // 000000008390: D100001D 013BF5F8
	v_and_or_b32 v128, v29, v249, v28                          // 000000008398: D2010080 0473F31D
	v_cmp_u_f32_e64 s[78:79], v130, v130                       // 0000000083A0: D048004E 00030582
	v_bfe_u32 v248, v130, 16, 1                                // 0000000083A8: D1C800F8 02052182
	v_add3_u32 v248, v130, v248, v251                          // 0000000083B0: D1FF00F8 07EFF182
	v_cndmask_b32_e64 v28, v248, v250, s[78:79]                // 0000000083B8: D100001C 013BF5F8
	v_lshrrev_b32_e32 v28, 16, v28                             // 0000000083C0: 20383890
	v_cmp_u_f32_e64 s[78:79], v131, v131                       // 0000000083C4: D048004E 00030783
	v_bfe_u32 v248, v131, 16, 1                                // 0000000083CC: D1C800F8 02052183
	v_add3_u32 v248, v131, v248, v251                          // 0000000083D4: D1FF00F8 07EFF183
	v_cndmask_b32_e64 v29, v248, v250, s[78:79]                // 0000000083DC: D100001D 013BF5F8
	v_and_or_b32 v129, v29, v249, v28                          // 0000000083E4: D2010081 0473F31D
	v_mfma_f32_16x16x16_bf16 v[48:51], a[158:159], a[14:15], v[48:51]// 0000000083EC: D3E10030 1CC21D9E
	v_cmp_u_f32_e64 s[78:79], v132, v132                       // 0000000083F4: D048004E 00030984
	v_bfe_u32 v248, v132, 16, 1                                // 0000000083FC: D1C800F8 02052184
	v_add3_u32 v248, v132, v248, v251                          // 000000008404: D1FF00F8 07EFF184
	v_cndmask_b32_e64 v28, v248, v250, s[78:79]                // 00000000840C: D100001C 013BF5F8
	v_lshrrev_b32_e32 v28, 16, v28                             // 000000008414: 20383890
	v_cmp_u_f32_e64 s[78:79], v133, v133                       // 000000008418: D048004E 00030B85
	v_bfe_u32 v248, v133, 16, 1                                // 000000008420: D1C800F8 02052185
	v_add3_u32 v248, v133, v248, v251                          // 000000008428: D1FF00F8 07EFF185
	v_cndmask_b32_e64 v29, v248, v250, s[78:79]                // 000000008430: D100001D 013BF5F8
	v_and_or_b32 v130, v29, v249, v28                          // 000000008438: D2010082 0473F31D
	v_cmp_u_f32_e64 s[78:79], v134, v134                       // 000000008440: D048004E 00030D86
	v_bfe_u32 v248, v134, 16, 1                                // 000000008448: D1C800F8 02052186
	v_add3_u32 v248, v134, v248, v251                          // 000000008450: D1FF00F8 07EFF186
	v_cndmask_b32_e64 v28, v248, v250, s[78:79]                // 000000008458: D100001C 013BF5F8
	v_lshrrev_b32_e32 v28, 16, v28                             // 000000008460: 20383890
	v_cmp_u_f32_e64 s[78:79], v135, v135                       // 000000008464: D048004E 00030F87
	v_bfe_u32 v248, v135, 16, 1                                // 00000000846C: D1C800F8 02052187
	v_add3_u32 v248, v135, v248, v251                          // 000000008474: D1FF00F8 07EFF187
	v_cndmask_b32_e64 v29, v248, v250, s[78:79]                // 00000000847C: D100001D 013BF5F8
	v_and_or_b32 v131, v29, v249, v28                          // 000000008484: D2010083 0473F31D
	v_mfma_f32_16x16x16_bf16 v[52:55], a[144:145], a[16:17], 0 // 00000000848C: D3E10034 1A022190
	v_mfma_f32_16x16x16_bf16 v[52:55], a[146:147], a[18:19], v[52:55]// 000000008494: D3E10034 1CD22592
	ds_write_b64 v22, v[128:129] offset:24320                  // 00000000849C: D89A5F00 00008016
	v_mfma_f32_16x16x16_bf16 v[52:55], a[148:149], a[20:21], v[52:55]// 0000000084A4: D3E10034 1CD22994
	v_mfma_f32_16x16x16_bf16 v[52:55], a[150:151], a[22:23], v[52:55]// 0000000084AC: D3E10034 1CD22D96
	ds_write_b64 v22, v[130:131] offset:24864                  // 0000000084B4: D89A6120 00008216
	v_mfma_f32_16x16x16_bf16 v[52:55], a[152:153], a[24:25], v[52:55]// 0000000084BC: D3E10034 1CD23198
	v_mfma_f32_16x16x16_bf16 v[52:55], a[154:155], a[26:27], v[52:55]// 0000000084C4: D3E10034 1CD2359A
	ds_read_b128 v[108:111], v14 offset:13056                  // 0000000084CC: D9FE3300 6C00000E
	ds_write_b32 v13, v36                                      // 0000000084D4: D81A0000 0000240D
	v_mfma_f32_16x16x16_bf16 v[52:55], a[156:157], a[28:29], v[52:55]// 0000000084DC: D3E10034 1CD2399C
	v_mfma_f32_16x16x16_bf16 v[52:55], a[158:159], a[30:31], v[52:55]// 0000000084E4: D3E10034 1CD23D9E
	v_mfma_f32_16x16x16_bf16 v[56:59], a[144:145], a[32:33], 0 // 0000000084EC: D3E10038 1A024190
	ds_read_b128 v[112:115], v14 offset:13568                  // 0000000084F4: D9FE3500 7000000E
	ds_write_b32 v13, v37 offset:1056                          // 0000000084FC: D81A0420 0000250D
	v_mfma_f32_16x16x16_bf16 v[56:59], a[146:147], a[34:35], v[56:59]// 000000008504: D3E10038 1CE24592
	v_mfma_f32_16x16x16_bf16 v[56:59], a[148:149], a[36:37], v[56:59]// 00000000850C: D3E10038 1CE24994
	v_mfma_f32_16x16x16_bf16 v[56:59], a[150:151], a[38:39], v[56:59]// 000000008514: D3E10038 1CE24D96
	ds_read_b128 v[116:119], v14 offset:15232                  // 00000000851C: D9FE3B80 7400000E
	ds_write_b32 v13, v38 offset:128                           // 000000008524: D81A0080 0000260D
	v_mfma_f32_16x16x16_bf16 v[56:59], a[152:153], a[40:41], v[56:59]// 00000000852C: D3E10038 1CE25198
	v_mfma_f32_16x16x16_bf16 v[56:59], a[154:155], a[42:43], v[56:59]// 000000008534: D3E10038 1CE2559A
	v_mfma_f32_16x16x16_bf16 v[56:59], a[156:157], a[44:45], v[56:59]// 00000000853C: D3E10038 1CE2599C
	ds_read_b128 v[120:123], v14 offset:15744                  // 000000008544: D9FE3D80 7800000E
	ds_write_b32 v13, v39 offset:1184                          // 00000000854C: D81A04A0 0000270D
	v_mfma_f32_16x16x16_bf16 v[56:59], a[158:159], a[46:47], v[56:59]// 000000008554: D3E10038 1CE25D9E
	s_cmp_lt_i32 s74, 12                                       // 00000000855C: BF048C4A
	s_cbranch_scc0 label_124E                                  // 000000008560: BF840075
	s_mov_b32 s60, 0xffe0fffe                                  // 000000008564: BEBC00FF FFE0FFFE
	s_mov_b32 s61, 0xe000fe00                                  // 00000000856C: BEBD00FF E000FE00
	s_nop 0                                                    // 000000008574: BF800000
	s_add_u32 s62, 0, s47                                      // 000000008578: 803E2F80
	s_cmp_lt_i32 s74, s62                                      // 00000000857C: BF043E4A
	s_cbranch_scc1 label_1209                                  // 000000008580: BF850028
	s_cmp_eq_i32 s74, s62                                      // 000000008584: BF003E4A
	s_cbranch_scc1 label_11EE                                  // 000000008588: BF85000B
	s_add_u32 s62, 4, s47                                      // 00000000858C: 803E2F84
	s_cmp_lt_i32 s74, s62                                      // 000000008590: BF043E4A
	s_cbranch_scc1 label_1229                                  // 000000008594: BF850043
	s_cmp_eq_i32 s74, s62                                      // 000000008598: BF003E4A
	s_cbranch_scc1 label_120E                                  // 00000000859C: BF850026
	s_add_u32 s62, 8, s47                                      // 0000000085A0: 803E2F88
	s_cmp_lt_i32 s74, s62                                      // 0000000085A4: BF043E4A
	s_cbranch_scc1 label_1249                                  // 0000000085A8: BF85005E
	s_cmp_eq_i32 s74, s62                                      // 0000000085AC: BF003E4A
	s_cbranch_scc1 label_122E                                  // 0000000085B0: BF850041
	s_branch label_124E                                        // 0000000085B4: BF820060

00000000000085b8 <label_11EE>:
	v_cndmask_b32_e64 v48, v48, v151, s[60:61]                 // 0000000085B8: D1000030 00F32F30
	s_lshl_b32 s60, s60, 1                                     // 0000000085C0: 8E3C813C
	s_lshl_b32 s61, s61, 1                                     // 0000000085C4: 8E3D813D
	s_and_b32 s60, 0xfffeffff, s60                             // 0000000085C8: 863C3CFF FFFEFFFF
	s_and_b32 s61, 0xfffeffff, s61                             // 0000000085D0: 863D3DFF FFFEFFFF
	v_cndmask_b32_e64 v49, v49, v151, s[60:61]                 // 0000000085D8: D1000031 00F32F31
	s_lshl_b32 s60, s60, 1                                     // 0000000085E0: 8E3C813C
	s_lshl_b32 s61, s61, 1                                     // 0000000085E4: 8E3D813D
	s_and_b32 s60, 0xfffeffff, s60                             // 0000000085E8: 863C3CFF FFFEFFFF
	s_and_b32 s61, 0xfffeffff, s61                             // 0000000085F0: 863D3DFF FFFEFFFF
	v_cndmask_b32_e64 v50, v50, v151, s[60:61]                 // 0000000085F8: D1000032 00F32F32
	s_lshl_b32 s60, s60, 1                                     // 000000008600: 8E3C813C
	s_lshl_b32 s61, s61, 1                                     // 000000008604: 8E3D813D
	s_and_b32 s60, 0xfffeffff, s60                             // 000000008608: 863C3CFF FFFEFFFF
	s_and_b32 s61, 0xfffeffff, s61                             // 000000008610: 863D3DFF FFFEFFFF
	v_cndmask_b32_e64 v51, v51, v151, s[60:61]                 // 000000008618: D1000033 00F32F33
	s_branch label_1229                                        // 000000008620: BF820020

0000000000008624 <label_1209>:
	v_mov_b32_e32 v48, v151                                    // 000000008624: 7E600397
	v_mov_b32_e32 v49, v151                                    // 000000008628: 7E620397
	v_mov_b32_e32 v50, v151                                    // 00000000862C: 7E640397
	v_mov_b32_e32 v51, v151                                    // 000000008630: 7E660397
	s_branch label_1229                                        // 000000008634: BF82001B

0000000000008638 <label_120E>:
	v_cndmask_b32_e64 v52, v52, v151, s[60:61]                 // 000000008638: D1000034 00F32F34
	s_lshl_b32 s60, s60, 1                                     // 000000008640: 8E3C813C
	s_lshl_b32 s61, s61, 1                                     // 000000008644: 8E3D813D
	s_and_b32 s60, 0xfffeffff, s60                             // 000000008648: 863C3CFF FFFEFFFF
	s_and_b32 s61, 0xfffeffff, s61                             // 000000008650: 863D3DFF FFFEFFFF
	v_cndmask_b32_e64 v53, v53, v151, s[60:61]                 // 000000008658: D1000035 00F32F35
	s_lshl_b32 s60, s60, 1                                     // 000000008660: 8E3C813C
	s_lshl_b32 s61, s61, 1                                     // 000000008664: 8E3D813D
	s_and_b32 s60, 0xfffeffff, s60                             // 000000008668: 863C3CFF FFFEFFFF
	s_and_b32 s61, 0xfffeffff, s61                             // 000000008670: 863D3DFF FFFEFFFF
	v_cndmask_b32_e64 v54, v54, v151, s[60:61]                 // 000000008678: D1000036 00F32F36
	s_lshl_b32 s60, s60, 1                                     // 000000008680: 8E3C813C
	s_lshl_b32 s61, s61, 1                                     // 000000008684: 8E3D813D
	s_and_b32 s60, 0xfffeffff, s60                             // 000000008688: 863C3CFF FFFEFFFF
	s_and_b32 s61, 0xfffeffff, s61                             // 000000008690: 863D3DFF FFFEFFFF
	v_cndmask_b32_e64 v55, v55, v151, s[60:61]                 // 000000008698: D1000037 00F32F37
	s_branch label_1249                                        // 0000000086A0: BF820020

00000000000086a4 <label_1229>:
	v_mov_b32_e32 v52, v151                                    // 0000000086A4: 7E680397
	v_mov_b32_e32 v53, v151                                    // 0000000086A8: 7E6A0397
	v_mov_b32_e32 v54, v151                                    // 0000000086AC: 7E6C0397
	v_mov_b32_e32 v55, v151                                    // 0000000086B0: 7E6E0397
	s_branch label_1249                                        // 0000000086B4: BF82001B

00000000000086b8 <label_122E>:
	v_cndmask_b32_e64 v56, v56, v151, s[60:61]                 // 0000000086B8: D1000038 00F32F38
	s_lshl_b32 s60, s60, 1                                     // 0000000086C0: 8E3C813C
	s_lshl_b32 s61, s61, 1                                     // 0000000086C4: 8E3D813D
	s_and_b32 s60, 0xfffeffff, s60                             // 0000000086C8: 863C3CFF FFFEFFFF
	s_and_b32 s61, 0xfffeffff, s61                             // 0000000086D0: 863D3DFF FFFEFFFF
	v_cndmask_b32_e64 v57, v57, v151, s[60:61]                 // 0000000086D8: D1000039 00F32F39
	s_lshl_b32 s60, s60, 1                                     // 0000000086E0: 8E3C813C
	s_lshl_b32 s61, s61, 1                                     // 0000000086E4: 8E3D813D
	s_and_b32 s60, 0xfffeffff, s60                             // 0000000086E8: 863C3CFF FFFEFFFF
	s_and_b32 s61, 0xfffeffff, s61                             // 0000000086F0: 863D3DFF FFFEFFFF
	v_cndmask_b32_e64 v58, v58, v151, s[60:61]                 // 0000000086F8: D100003A 00F32F3A
	s_lshl_b32 s60, s60, 1                                     // 000000008700: 8E3C813C
	s_lshl_b32 s61, s61, 1                                     // 000000008704: 8E3D813D
	s_and_b32 s60, 0xfffeffff, s60                             // 000000008708: 863C3CFF FFFEFFFF
	s_and_b32 s61, 0xfffeffff, s61                             // 000000008710: 863D3DFF FFFEFFFF
	v_cndmask_b32_e64 v59, v59, v151, s[60:61]                 // 000000008718: D100003B 00F32F3B
	s_branch label_124E                                        // 000000008720: BF820005

0000000000008724 <label_1249>:
	v_mov_b32_e32 v56, v151                                    // 000000008724: 7E700397
	v_mov_b32_e32 v57, v151                                    // 000000008728: 7E720397
	v_mov_b32_e32 v58, v151                                    // 00000000872C: 7E740397
	v_mov_b32_e32 v59, v151                                    // 000000008730: 7E760397
	s_branch label_124E                                        // 000000008734: BF820000

0000000000008738 <label_124E>:
	s_addk_i32 s74, 0x1                                        // 000000008738: B74A0001
	s_waitcnt lgkmcnt(8)                                       // 00000000873C: BF8CC87F
	s_barrier                                                  // 000000008740: BF8A0000
	v_mfma_f32_16x16x16_bf16 v[72:75], v[92:93], a[96:97], 0   // 000000008744: D3E10048 1202C15C
	v_fma_f32 v48, v48, s57, -v124                             // 00000000874C: D1CB0030 85F07330
	v_fma_f32 v49, v49, s57, -v125                             // 000000008754: D1CB0031 85F47331
	v_fma_f32 v50, v50, s57, -v126                             // 00000000875C: D1CB0032 85F87332
	v_mfma_f32_16x16x16_bf16 v[72:75], v[94:95], a[98:99], v[72:75]// 000000008764: D3E10048 1522C55E
	ds_read_b128 a[144:147], v14 offset:4352                   // 00000000876C: DBFE1100 9000000E
	ds_read_b128 a[148:151], v14 offset:4864                   // 000000008774: DBFE1300 9400000E
	v_mfma_f32_16x16x16_bf16 v[72:75], v[96:97], a[100:101], v[72:75]// 00000000877C: D3E10048 1522C960
	v_fma_f32 v51, v51, s57, -v127                             // 000000008784: D1CB0033 85FC7333
	v_fma_f32 v52, v52, s57, -v124                             // 00000000878C: D1CB0034 85F07334
	v_fma_f32 v53, v53, s57, -v125                             // 000000008794: D1CB0035 85F47335
	v_mfma_f32_16x16x16_bf16 v[72:75], v[98:99], a[102:103], v[72:75]// 00000000879C: D3E10048 1522CD62
	v_fma_f32 v54, v54, s57, -v126                             // 0000000087A4: D1CB0036 85F87336
	v_fma_f32 v55, v55, s57, -v127                             // 0000000087AC: D1CB0037 85FC7337
	v_fma_f32 v56, v56, s57, -v124                             // 0000000087B4: D1CB0038 85F07338
	v_mfma_f32_16x16x16_bf16 v[72:75], v[100:101], a[104:105], v[72:75]// 0000000087BC: D3E10048 1522D164
	v_fma_f32 v57, v57, s57, -v125                             // 0000000087C4: D1CB0039 85F47339
	v_fma_f32 v58, v58, s57, -v126                             // 0000000087CC: D1CB003A 85F8733A
	v_fma_f32 v59, v59, s57, -v127                             // 0000000087D4: D1CB003B 85FC733B
	v_mfma_f32_16x16x16_bf16 v[72:75], v[102:103], a[106:107], v[72:75]// 0000000087DC: D3E10048 1522D566
	ds_read_b128 a[152:155], v14 offset:6528                   // 0000000087E4: DBFE1980 9800000E
	ds_read_b128 a[156:159], v14 offset:7040                   // 0000000087EC: DBFE1B80 9C00000E
	v_mfma_f32_16x16x16_bf16 v[72:75], v[104:105], a[108:109], v[72:75]// 0000000087F4: D3E10048 1522D968
	v_exp_f32_e32 v48, v48                                     // 0000000087FC: 7E604130
	v_mfma_f32_16x16x16_bf16 v[72:75], v[106:107], a[110:111], v[72:75]// 000000008800: D3E10048 1522DD6A
	v_exp_f32_e32 v49, v49                                     // 000000008808: 7E624131
	v_mfma_f32_16x16x16_bf16 v[76:79], v[92:93], a[112:113], 0 // 00000000880C: D3E1004C 1202E15C
	v_exp_f32_e32 v50, v50                                     // 000000008814: 7E644132
	v_mfma_f32_16x16x16_bf16 v[76:79], v[94:95], a[114:115], v[76:79]// 000000008818: D3E1004C 1532E55E
	ds_read_b32 v136, v21 offset:24320                         // 000000008820: D86C5F00 88000015
	ds_read_b32 v137, v21 offset:24336                         // 000000008828: D86C5F10 89000015
	v_mfma_f32_16x16x16_bf16 v[76:79], v[96:97], a[116:117], v[76:79]// 000000008830: D3E1004C 1532E960
	v_exp_f32_e32 v51, v51                                     // 000000008838: 7E664133
	v_mfma_f32_16x16x16_bf16 v[76:79], v[98:99], a[118:119], v[76:79]// 00000000883C: D3E1004C 1532ED62
	ds_read_b32 v138, v21 offset:26496                         // 000000008844: D86C6780 8A000015
	ds_read_b32 v139, v21 offset:26512                         // 00000000884C: D86C6790 8B000015
	v_mfma_f32_16x16x16_bf16 v[76:79], v[100:101], a[120:121], v[76:79]// 000000008854: D3E1004C 1532F164
	v_exp_f32_e32 v52, v52                                     // 00000000885C: 7E684134
	v_mfma_f32_16x16x16_bf16 v[76:79], v[102:103], a[122:123], v[76:79]// 000000008860: D3E1004C 1532F566
	v_exp_f32_e32 v53, v53                                     // 000000008868: 7E6A4135
	v_mfma_f32_16x16x16_bf16 v[76:79], v[104:105], a[124:125], v[76:79]// 00000000886C: D3E1004C 1532F968
	v_exp_f32_e32 v54, v54                                     // 000000008874: 7E6C4136
	v_mfma_f32_16x16x16_bf16 v[76:79], v[106:107], a[126:127], v[76:79]// 000000008878: D3E1004C 1532FD6A
	v_exp_f32_e32 v55, v55                                     // 000000008880: 7E6E4137
	v_mfma_f32_16x16x16_bf16 v[80:83], v[92:93], a[128:129], 0 // 000000008884: D3E10050 1203015C
	v_exp_f32_e32 v56, v56                                     // 00000000888C: 7E704138
	v_mfma_f32_16x16x16_bf16 v[80:83], v[94:95], a[130:131], v[80:83]// 000000008890: D3E10050 1543055E
	v_exp_f32_e32 v57, v57                                     // 000000008898: 7E724139
	v_mfma_f32_16x16x16_bf16 v[80:83], v[96:97], a[132:133], v[80:83]// 00000000889C: D3E10050 15430960
	v_exp_f32_e32 v58, v58                                     // 0000000088A4: 7E74413A
	v_mfma_f32_16x16x16_bf16 v[80:83], v[98:99], a[134:135], v[80:83]// 0000000088A8: D3E10050 15430D62
	v_exp_f32_e32 v59, v59                                     // 0000000088B0: 7E76413B
	v_mfma_f32_16x16x16_bf16 v[80:83], v[100:101], a[136:137], v[80:83]// 0000000088B4: D3E10050 15431164
	v_cmp_u_f32_e64 s[78:79], v48, v48                         // 0000000088BC: D048004E 00026130
	v_bfe_u32 v248, v48, 16, 1                                 // 0000000088C4: D1C800F8 02052130
	v_add3_u32 v248, v48, v248, v251                           // 0000000088CC: D1FF00F8 07EFF130
	v_cndmask_b32_e64 v28, v248, v250, s[78:79]                // 0000000088D4: D100001C 013BF5F8
	v_lshrrev_b32_e32 v28, 16, v28                             // 0000000088DC: 20383890
	v_cmp_u_f32_e64 s[78:79], v49, v49                         // 0000000088E0: D048004E 00026331
	v_bfe_u32 v248, v49, 16, 1                                 // 0000000088E8: D1C800F8 02052131
	v_add3_u32 v248, v49, v248, v251                           // 0000000088F0: D1FF00F8 07EFF131
	v_cndmask_b32_e64 v29, v248, v250, s[78:79]                // 0000000088F8: D100001D 013BF5F8
	v_and_or_b32 v144, v29, v249, v28                          // 000000008900: D2010090 0473F31D
	v_cmp_u_f32_e64 s[78:79], v50, v50                         // 000000008908: D048004E 00026532
	v_bfe_u32 v248, v50, 16, 1                                 // 000000008910: D1C800F8 02052132
	v_add3_u32 v248, v50, v248, v251                           // 000000008918: D1FF00F8 07EFF132
	v_cndmask_b32_e64 v28, v248, v250, s[78:79]                // 000000008920: D100001C 013BF5F8
	v_lshrrev_b32_e32 v28, 16, v28                             // 000000008928: 20383890
	v_cmp_u_f32_e64 s[78:79], v51, v51                         // 00000000892C: D048004E 00026733
	v_bfe_u32 v248, v51, 16, 1                                 // 000000008934: D1C800F8 02052133
	v_add3_u32 v248, v51, v248, v251                           // 00000000893C: D1FF00F8 07EFF133
	v_cndmask_b32_e64 v29, v248, v250, s[78:79]                // 000000008944: D100001D 013BF5F8
	v_and_or_b32 v145, v29, v249, v28                          // 00000000894C: D2010091 0473F31D
	v_cmp_u_f32_e64 s[78:79], v52, v52                         // 000000008954: D048004E 00026934
	v_bfe_u32 v248, v52, 16, 1                                 // 00000000895C: D1C800F8 02052134
	v_add3_u32 v248, v52, v248, v251                           // 000000008964: D1FF00F8 07EFF134
	v_cndmask_b32_e64 v28, v248, v250, s[78:79]                // 00000000896C: D100001C 013BF5F8
	v_lshrrev_b32_e32 v28, 16, v28                             // 000000008974: 20383890
	v_cmp_u_f32_e64 s[78:79], v53, v53                         // 000000008978: D048004E 00026B35
	v_bfe_u32 v248, v53, 16, 1                                 // 000000008980: D1C800F8 02052135
	v_add3_u32 v248, v53, v248, v251                           // 000000008988: D1FF00F8 07EFF135
	v_cndmask_b32_e64 v29, v248, v250, s[78:79]                // 000000008990: D100001D 013BF5F8
	v_and_or_b32 v146, v29, v249, v28                          // 000000008998: D2010092 0473F31D
	v_mfma_f32_16x16x16_bf16 v[80:83], v[102:103], a[138:139], v[80:83]// 0000000089A0: D3E10050 15431566
	v_cmp_u_f32_e64 s[78:79], v54, v54                         // 0000000089A8: D048004E 00026D36
	v_bfe_u32 v248, v54, 16, 1                                 // 0000000089B0: D1C800F8 02052136
	v_add3_u32 v248, v54, v248, v251                           // 0000000089B8: D1FF00F8 07EFF136
	v_cndmask_b32_e64 v28, v248, v250, s[78:79]                // 0000000089C0: D100001C 013BF5F8
	v_lshrrev_b32_e32 v28, 16, v28                             // 0000000089C8: 20383890
	v_cmp_u_f32_e64 s[78:79], v55, v55                         // 0000000089CC: D048004E 00026F37
	v_bfe_u32 v248, v55, 16, 1                                 // 0000000089D4: D1C800F8 02052137
	v_add3_u32 v248, v55, v248, v251                           // 0000000089DC: D1FF00F8 07EFF137
	v_cndmask_b32_e64 v29, v248, v250, s[78:79]                // 0000000089E4: D100001D 013BF5F8
	v_and_or_b32 v147, v29, v249, v28                          // 0000000089EC: D2010093 0473F31D
	v_cmp_u_f32_e64 s[78:79], v56, v56                         // 0000000089F4: D048004E 00027138
	v_bfe_u32 v248, v56, 16, 1                                 // 0000000089FC: D1C800F8 02052138
	v_add3_u32 v248, v56, v248, v251                           // 000000008A04: D1FF00F8 07EFF138
	v_cndmask_b32_e64 v28, v248, v250, s[78:79]                // 000000008A0C: D100001C 013BF5F8
	v_lshrrev_b32_e32 v28, 16, v28                             // 000000008A14: 20383890
	v_cmp_u_f32_e64 s[78:79], v57, v57                         // 000000008A18: D048004E 00027339
	v_bfe_u32 v248, v57, 16, 1                                 // 000000008A20: D1C800F8 02052139
	v_add3_u32 v248, v57, v248, v251                           // 000000008A28: D1FF00F8 07EFF139
	v_cndmask_b32_e64 v29, v248, v250, s[78:79]                // 000000008A30: D100001D 013BF5F8
	v_and_or_b32 v148, v29, v249, v28                          // 000000008A38: D2010094 0473F31D
	v_cmp_u_f32_e64 s[78:79], v58, v58                         // 000000008A40: D048004E 0002753A
	v_bfe_u32 v248, v58, 16, 1                                 // 000000008A48: D1C800F8 0205213A
	v_add3_u32 v248, v58, v248, v251                           // 000000008A50: D1FF00F8 07EFF13A
	v_cndmask_b32_e64 v28, v248, v250, s[78:79]                // 000000008A58: D100001C 013BF5F8
	v_lshrrev_b32_e32 v28, 16, v28                             // 000000008A60: 20383890
	v_cmp_u_f32_e64 s[78:79], v59, v59                         // 000000008A64: D048004E 0002773B
	v_bfe_u32 v248, v59, 16, 1                                 // 000000008A6C: D1C800F8 0205213B
	v_add3_u32 v248, v59, v248, v251                           // 000000008A74: D1FF00F8 07EFF13B
	v_cndmask_b32_e64 v29, v248, v250, s[78:79]                // 000000008A7C: D100001D 013BF5F8
	v_and_or_b32 v149, v29, v249, v28                          // 000000008A84: D2010095 0473F31D
	v_mfma_f32_16x16x16_bf16 v[80:83], v[104:105], a[140:141], v[80:83]// 000000008A8C: D3E10050 15431968
	s_add_u32 s32, s66, s32                                    // 000000008A94: 80202042
	s_addc_u32 s33, 0, s33                                     // 000000008A98: 82212180
	v_mfma_f32_16x16x16_bf16 v[80:83], v[106:107], a[142:143], v[80:83]// 000000008A9C: D3E10050 15431D6A
	s_waitcnt lgkmcnt(0)                                       // 000000008AA4: BF8CC07F
	s_barrier                                                  // 000000008AA8: BF8A0000
	v_mfma_f32_16x16x16_bf16 v[152:155], v[108:109], v[144:145], v[152:155]// 000000008AAC: D3E10098 0663216C
	v_subrev_f32_dpp v72, v150, v72 quad_perm:[0,0,0,0] row_mask:0xf bank_mask:0xf// 000000008AB4: 069090FA FF000096
	v_subrev_f32_dpp v73, v150, v73 quad_perm:[1,1,1,1] row_mask:0xf bank_mask:0xf// 000000008ABC: 069292FA FF005596
	v_subrev_f32_dpp v74, v150, v74 quad_perm:[2,2,2,2] row_mask:0xf bank_mask:0xf// 000000008AC4: 069494FA FF00AA96
	v_mfma_f32_16x16x16_bf16 v[156:159], v[110:111], v[144:145], v[156:159]// 000000008ACC: D3E1009C 0673216E
	v_subrev_f32_dpp v75, v150, v75 quad_perm:[3,3,3,3] row_mask:0xf bank_mask:0xf// 000000008AD4: 069696FA FF00FF96
	v_subrev_f32_dpp v76, v150, v76 quad_perm:[0,0,0,0] row_mask:0xf bank_mask:0xf// 000000008ADC: 069898FA FF000096
	v_subrev_f32_dpp v77, v150, v77 quad_perm:[1,1,1,1] row_mask:0xf bank_mask:0xf// 000000008AE4: 069A9AFA FF005596
	v_mfma_f32_16x16x16_bf16 v[160:163], v[112:113], v[144:145], v[160:163]// 000000008AEC: D3E100A0 06832170
	v_mul_f32_e32 v72, v48, v72                                // 000000008AF4: 0A909130
	v_mul_f32_e32 v73, v49, v73                                // 000000008AF8: 0A929331
	v_mul_f32_e32 v74, v50, v74                                // 000000008AFC: 0A949532
	v_mfma_f32_16x16x16_bf16 v[164:167], v[114:115], v[144:145], v[164:167]// 000000008B00: D3E100A4 06932172
	v_mul_f32_e32 v75, v51, v75                                // 000000008B08: 0A969733
	v_mul_f32_e32 v76, v52, v76                                // 000000008B0C: 0A989934
	v_mul_f32_e32 v77, v53, v77                                // 000000008B10: 0A9A9B35
	v_mfma_f32_16x16x16_bf16 v[168:171], v[116:117], v[144:145], v[168:171]// 000000008B14: D3E100A8 06A32174
	v_cmp_u_f32_e64 s[78:79], v72, v72                         // 000000008B1C: D048004E 00029148
	v_bfe_u32 v248, v72, 16, 1                                 // 000000008B24: D1C800F8 02052148
	v_add3_u32 v248, v72, v248, v251                           // 000000008B2C: D1FF00F8 07EFF148
	v_cndmask_b32_e64 v28, v248, v250, s[78:79]                // 000000008B34: D100001C 013BF5F8
	v_lshrrev_b32_e32 v28, 16, v28                             // 000000008B3C: 20383890
	v_cmp_u_f32_e64 s[78:79], v73, v73                         // 000000008B40: D048004E 00029349
	v_bfe_u32 v248, v73, 16, 1                                 // 000000008B48: D1C800F8 02052149
	v_add3_u32 v248, v73, v248, v251                           // 000000008B50: D1FF00F8 07EFF149
	v_cndmask_b32_e64 v29, v248, v250, s[78:79]                // 000000008B58: D100001D 013BF5F8
	v_and_or_b32 v72, v29, v249, v28                           // 000000008B60: D2010048 0473F31D
	v_cmp_u_f32_e64 s[78:79], v74, v74                         // 000000008B68: D048004E 0002954A
	v_bfe_u32 v248, v74, 16, 1                                 // 000000008B70: D1C800F8 0205214A
	v_add3_u32 v248, v74, v248, v251                           // 000000008B78: D1FF00F8 07EFF14A
	v_cndmask_b32_e64 v28, v248, v250, s[78:79]                // 000000008B80: D100001C 013BF5F8
	v_lshrrev_b32_e32 v28, 16, v28                             // 000000008B88: 20383890
	v_cmp_u_f32_e64 s[78:79], v75, v75                         // 000000008B8C: D048004E 0002974B
	v_bfe_u32 v248, v75, 16, 1                                 // 000000008B94: D1C800F8 0205214B
	v_add3_u32 v248, v75, v248, v251                           // 000000008B9C: D1FF00F8 07EFF14B
	v_cndmask_b32_e64 v29, v248, v250, s[78:79]                // 000000008BA4: D100001D 013BF5F8
	v_and_or_b32 v73, v29, v249, v28                           // 000000008BAC: D2010049 0473F31D
	v_cmp_u_f32_e64 s[78:79], v76, v76                         // 000000008BB4: D048004E 0002994C
	v_bfe_u32 v248, v76, 16, 1                                 // 000000008BBC: D1C800F8 0205214C
	v_add3_u32 v248, v76, v248, v251                           // 000000008BC4: D1FF00F8 07EFF14C
	v_cndmask_b32_e64 v28, v248, v250, s[78:79]                // 000000008BCC: D100001C 013BF5F8
	v_lshrrev_b32_e32 v28, 16, v28                             // 000000008BD4: 20383890
	v_cmp_u_f32_e64 s[78:79], v77, v77                         // 000000008BD8: D048004E 00029B4D
	v_bfe_u32 v248, v77, 16, 1                                 // 000000008BE0: D1C800F8 0205214D
	v_add3_u32 v248, v77, v248, v251                           // 000000008BE8: D1FF00F8 07EFF14D
	v_cndmask_b32_e64 v29, v248, v250, s[78:79]                // 000000008BF0: D100001D 013BF5F8
	v_and_or_b32 v74, v29, v249, v28                           // 000000008BF8: D201004A 0473F31D
	v_mfma_f32_16x16x16_bf16 v[172:175], v[118:119], v[144:145], v[172:175]// 000000008C00: D3E100AC 06B32176
	v_mov_b32_dpp v18, v72 quad_perm:[1,0,3,2] row_mask:0xf bank_mask:0xf// 000000008C08: 7E2402FA FF00B148
	v_perm_b32 v48, v18, v72, v17                              // 000000008C10: D1ED0030 04469112
	v_mov_b32_dpp v18, v73 quad_perm:[1,0,3,2] row_mask:0xf bank_mask:0xf// 000000008C18: 7E2402FA FF00B149
	v_mfma_f32_16x16x16_bf16 v[176:179], v[120:121], v[144:145], v[176:179]// 000000008C20: D3E100B0 06C32178
	ds_write_b32 v20, v48 offset:17408                         // 000000008C28: D81A4400 00003014
	v_mfma_f32_16x16x16_bf16 v[180:183], v[122:123], v[144:145], v[180:183]// 000000008C30: D3E100B4 06D3217A
	v_perm_b32 v49, v18, v73, v17                              // 000000008C38: D1ED0031 04469312
	v_mov_b32_dpp v18, v74 quad_perm:[1,0,3,2] row_mask:0xf bank_mask:0xf// 000000008C40: 7E2402FA FF00B14A
	v_perm_b32 v50, v18, v74, v17                              // 000000008C48: D1ED0032 04469512
	v_mfma_f32_16x16x16_bf16 v[184:187], v[108:109], v[146:147], v[184:187]// 000000008C50: D3E100B8 06E3256C
	ds_write_b32 v20, v49 offset:17952                         // 000000008C58: D81A4620 00003114
	v_mfma_f32_16x16x16_bf16 v[188:191], v[110:111], v[146:147], v[188:191]// 000000008C60: D3E100BC 06F3256E
	v_subrev_f32_dpp v78, v150, v78 quad_perm:[2,2,2,2] row_mask:0xf bank_mask:0xf// 000000008C68: 069C9CFA FF00AA96
	v_subrev_f32_dpp v79, v150, v79 quad_perm:[3,3,3,3] row_mask:0xf bank_mask:0xf// 000000008C70: 069E9EFA FF00FF96
	v_subrev_f32_dpp v80, v150, v80 quad_perm:[0,0,0,0] row_mask:0xf bank_mask:0xf// 000000008C78: 06A0A0FA FF000096
	v_mfma_f32_16x16x16_bf16 v[192:195], v[112:113], v[146:147], v[192:195]// 000000008C80: D3E100C0 07032570
	ds_write_b32 v20, v50 offset:19712                         // 000000008C88: D81A4D00 00003214
	v_mfma_f32_16x16x16_bf16 v[196:199], v[114:115], v[146:147], v[196:199]// 000000008C90: D3E100C4 07132572
	v_subrev_f32_dpp v81, v150, v81 quad_perm:[1,1,1,1] row_mask:0xf bank_mask:0xf// 000000008C98: 06A2A2FA FF005596
	v_subrev_f32_dpp v82, v150, v82 quad_perm:[2,2,2,2] row_mask:0xf bank_mask:0xf// 000000008CA0: 06A4A4FA FF00AA96
	v_subrev_f32_dpp v83, v150, v83 quad_perm:[3,3,3,3] row_mask:0xf bank_mask:0xf// 000000008CA8: 06A6A6FA FF00FF96
	v_mfma_f32_16x16x16_bf16 v[200:203], v[116:117], v[146:147], v[200:203]// 000000008CB0: D3E100C8 07232574
	v_mul_f32_e32 v78, v54, v78                                // 000000008CB8: 0A9C9D36
	v_mul_f32_e32 v79, v55, v79                                // 000000008CBC: 0A9E9F37
	v_mul_f32_e32 v80, v56, v80                                // 000000008CC0: 0AA0A138
	v_mfma_f32_16x16x16_bf16 v[204:207], v[118:119], v[146:147], v[204:207]// 000000008CC4: D3E100CC 07332576
	v_mul_f32_e32 v81, v57, v81                                // 000000008CCC: 0AA2A339
	v_mul_f32_e32 v82, v58, v82                                // 000000008CD0: 0AA4A53A
	v_mul_f32_e32 v83, v59, v83                                // 000000008CD4: 0AA6A73B
	v_mfma_f32_16x16x16_bf16 v[208:211], v[120:121], v[146:147], v[208:211]// 000000008CD8: D3E100D0 07432578
	v_cmp_u_f32_e64 s[78:79], v78, v78                         // 000000008CE0: D048004E 00029D4E
	v_bfe_u32 v248, v78, 16, 1                                 // 000000008CE8: D1C800F8 0205214E
	v_add3_u32 v248, v78, v248, v251                           // 000000008CF0: D1FF00F8 07EFF14E
	v_cndmask_b32_e64 v28, v248, v250, s[78:79]                // 000000008CF8: D100001C 013BF5F8
	v_lshrrev_b32_e32 v28, 16, v28                             // 000000008D00: 20383890
	v_cmp_u_f32_e64 s[78:79], v79, v79                         // 000000008D04: D048004E 00029F4F
	v_bfe_u32 v248, v79, 16, 1                                 // 000000008D0C: D1C800F8 0205214F
	v_add3_u32 v248, v79, v248, v251                           // 000000008D14: D1FF00F8 07EFF14F
	v_cndmask_b32_e64 v29, v248, v250, s[78:79]                // 000000008D1C: D100001D 013BF5F8
	v_and_or_b32 v75, v29, v249, v28                           // 000000008D24: D201004B 0473F31D
	v_cmp_u_f32_e64 s[78:79], v80, v80                         // 000000008D2C: D048004E 0002A150
	v_bfe_u32 v248, v80, 16, 1                                 // 000000008D34: D1C800F8 02052150
	v_add3_u32 v248, v80, v248, v251                           // 000000008D3C: D1FF00F8 07EFF150
	v_cndmask_b32_e64 v28, v248, v250, s[78:79]                // 000000008D44: D100001C 013BF5F8
	v_lshrrev_b32_e32 v28, 16, v28                             // 000000008D4C: 20383890
	v_cmp_u_f32_e64 s[78:79], v81, v81                         // 000000008D50: D048004E 0002A351
	v_bfe_u32 v248, v81, 16, 1                                 // 000000008D58: D1C800F8 02052151
	v_add3_u32 v248, v81, v248, v251                           // 000000008D60: D1FF00F8 07EFF151
	v_cndmask_b32_e64 v29, v248, v250, s[78:79]                // 000000008D68: D100001D 013BF5F8
	v_and_or_b32 v76, v29, v249, v28                           // 000000008D70: D201004C 0473F31D
	v_cmp_u_f32_e64 s[78:79], v82, v82                         // 000000008D78: D048004E 0002A552
	v_bfe_u32 v248, v82, 16, 1                                 // 000000008D80: D1C800F8 02052152
	v_add3_u32 v248, v82, v248, v251                           // 000000008D88: D1FF00F8 07EFF152
	v_cndmask_b32_e64 v28, v248, v250, s[78:79]                // 000000008D90: D100001C 013BF5F8
	v_lshrrev_b32_e32 v28, 16, v28                             // 000000008D98: 20383890
	v_cmp_u_f32_e64 s[78:79], v83, v83                         // 000000008D9C: D048004E 0002A753
	v_bfe_u32 v248, v83, 16, 1                                 // 000000008DA4: D1C800F8 02052153
	v_add3_u32 v248, v83, v248, v251                           // 000000008DAC: D1FF00F8 07EFF153
	v_cndmask_b32_e64 v29, v248, v250, s[78:79]                // 000000008DB4: D100001D 013BF5F8
	v_and_or_b32 v77, v29, v249, v28                           // 000000008DBC: D201004D 0473F31D
	v_mfma_f32_16x16x16_bf16 v[212:215], v[122:123], v[146:147], v[212:215]// 000000008DC4: D3E100D4 0753257A
	v_mov_b32_dpp v18, v75 quad_perm:[1,0,3,2] row_mask:0xf bank_mask:0xf// 000000008DCC: 7E2402FA FF00B14B
	v_perm_b32 v51, v18, v75, v17                              // 000000008DD4: D1ED0033 04469712
	v_mov_b32_dpp v18, v76 quad_perm:[1,0,3,2] row_mask:0xf bank_mask:0xf// 000000008DDC: 7E2402FA FF00B14C
	v_mfma_f32_16x16x16_bf16 v[216:219], v[108:109], v[148:149], v[216:219]// 000000008DE4: D3E100D8 0763296C
	ds_write_b32 v20, v51 offset:20256                         // 000000008DEC: D81A4F20 00003314
	v_mfma_f32_16x16x16_bf16 v[220:223], v[110:111], v[148:149], v[220:223]// 000000008DF4: D3E100DC 0773296E
	v_perm_b32 v52, v18, v76, v17                              // 000000008DFC: D1ED0034 04469912
	v_mov_b32_dpp v18, v77 quad_perm:[1,0,3,2] row_mask:0xf bank_mask:0xf// 000000008E04: 7E2402FA FF00B14D
	v_perm_b32 v53, v18, v77, v17                              // 000000008E0C: D1ED0035 04469B12
	v_mfma_f32_16x16x16_bf16 v[224:227], v[112:113], v[148:149], v[224:227]// 000000008E14: D3E100E0 07832970
	ds_write_b32 v20, v52 offset:22016                         // 000000008E1C: D81A5600 00003414
	ds_write_b32 v20, v53 offset:22560                         // 000000008E24: D81A5820 00003514
	v_mfma_f32_16x16x16_bf16 v[228:231], v[114:115], v[148:149], v[228:231]// 000000008E2C: D3E100E4 07932972
	v_mfma_f32_16x16x16_bf16 v[232:235], v[116:117], v[148:149], v[232:235]// 000000008E34: D3E100E8 07A32974
	ds_write_b32 v15, v84 offset:4352                          // 000000008E3C: D81A1100 0000540F
	ds_write_b32 v15, v85 offset:5408                          // 000000008E44: D81A1520 0000550F
	v_mfma_f32_16x16x16_bf16 v[236:239], v[118:119], v[148:149], v[236:239]// 000000008E4C: D3E100EC 07B32976
	v_mfma_f32_16x16x16_bf16 v[240:243], v[120:121], v[148:149], v[240:243]// 000000008E54: D3E100F0 07C32978
	ds_write_b32 v15, v86 offset:4480                          // 000000008E5C: D81A1180 0000560F
	ds_write_b32 v15, v87 offset:5536                          // 000000008E64: D81A15A0 0000570F
	v_mfma_f32_16x16x16_bf16 v[244:247], v[122:123], v[148:149], v[244:247]// 000000008E6C: D3E100F4 07D3297A
	s_nop 0                                                    // 000000008E74: BF800000
	s_nop 0                                                    // 000000008E78: BF800000
	s_nop 0                                                    // 000000008E7C: BF800000
	s_barrier                                                  // 000000008E80: BF8A0000
	v_mfma_f32_16x16x16_bf16 a[160:163], a[144:145], v[72:73], a[160:163]// 000000008E84: D3E180A0 0E829190
	ds_read_b32 v124, v23 offset:51200                         // 000000008E8C: D86CC800 7C000017
	ds_read_b32 v150, v23 offset:51456                         // 000000008E94: D86CC900 96000017
	v_mfma_f32_16x16x16_bf16 a[164:167], a[146:147], v[72:73], a[164:167]// 000000008E9C: D3E180A4 0E929192
	global_atomic_pk_add_bf16 v6, v136, s[32:33]               // 000000008EA4: DD488000 00208806
	v_mfma_f32_16x16x16_bf16 a[168:171], a[148:149], v[72:73], a[168:171]// 000000008EAC: D3E180A8 0EA29194
	s_waitcnt lgkmcnt(6)                                       // 000000008EB4: BF8CC67F
	s_barrier                                                  // 000000008EB8: BF8A0000
	v_mfma_f32_16x16x16_bf16 a[172:175], a[150:151], v[72:73], a[172:175]// 000000008EBC: D3E180AC 0EB29196
	v_mfma_f32_16x16x16_bf16 a[176:179], a[152:153], v[72:73], a[176:179]// 000000008EC4: D3E180B0 0EC29198
	ds_read_b128 v[48:51], v19 offset:17408                    // 000000008ECC: D9FE4400 30000013
	v_mfma_f32_16x16x16_bf16 a[180:183], a[154:155], v[72:73], a[180:183]// 000000008ED4: D3E180B4 0ED2919A
	v_mfma_f32_16x16x16_bf16 a[184:187], a[156:157], v[72:73], a[184:187]// 000000008EDC: D3E180B8 0EE2919C
	ds_read_b128 v[52:55], v19 offset:18560                    // 000000008EE4: D9FE4880 34000013
	v_mfma_f32_16x16x16_bf16 a[188:191], a[158:159], v[72:73], a[188:191]// 000000008EEC: D3E180BC 0EF2919E
	global_atomic_pk_add_bf16 v8, v137, s[32:33]               // 000000008EF4: DD488000 00208908
	v_mfma_f32_16x16x16_bf16 a[192:195], a[144:145], v[74:75], a[192:195]// 000000008EFC: D3E180C0 0F029590
	ds_read_b128 v[56:59], v19 offset:19712                    // 000000008F04: D9FE4D00 38000013
	v_mfma_f32_16x16x16_bf16 a[196:199], a[146:147], v[74:75], a[196:199]// 000000008F0C: D3E180C4 0F129592
	v_mfma_f32_16x16x16_bf16 a[200:203], a[148:149], v[74:75], a[200:203]// 000000008F14: D3E180C8 0F229594
	ds_read_b128 v[60:63], v19 offset:20864                    // 000000008F1C: D9FE5180 3C000013
	v_mfma_f32_16x16x16_bf16 a[204:207], a[150:151], v[74:75], a[204:207]// 000000008F24: D3E180CC 0F329596
	v_mfma_f32_16x16x16_bf16 a[208:211], a[152:153], v[74:75], a[208:211]// 000000008F2C: D3E180D0 0F429598
	ds_read_b128 v[64:67], v19 offset:22016                    // 000000008F34: D9FE5600 40000013
	v_mfma_f32_16x16x16_bf16 a[212:215], a[154:155], v[74:75], a[212:215]// 000000008F3C: D3E180D4 0F52959A
	s_mov_b64 exec, s[98:99]                                   // 000000008F44: BEFE0162
	global_atomic_pk_add_bf16 v6, v138, s[32:33] offset:128    // 000000008F48: DD488080 00208A06
	s_mov_b64 exec, s[92:93]                                   // 000000008F50: BEFE015C
	v_mfma_f32_16x16x16_bf16 a[216:219], a[156:157], v[74:75], a[216:219]// 000000008F54: D3E180D8 0F62959C
	ds_read_b128 v[68:71], v19 offset:23168                    // 000000008F5C: D9FE5A80 44000013
	v_mfma_f32_16x16x16_bf16 a[220:223], a[158:159], v[74:75], a[220:223]// 000000008F64: D3E180DC 0F72959E
	v_mfma_f32_16x16x16_bf16 a[224:227], a[144:145], v[76:77], a[224:227]// 000000008F6C: D3E180E0 0F829990
	ds_write_b32 v15, v88 offset:13056                         // 000000008F74: D81A3300 0000580F
	v_mfma_f32_16x16x16_bf16 a[228:231], a[146:147], v[76:77], a[228:231]// 000000008F7C: D3E180E4 0F929992
	v_mfma_f32_16x16x16_bf16 a[232:235], a[148:149], v[76:77], a[232:235]// 000000008F84: D3E180E8 0FA29994
	ds_write_b32 v15, v89 offset:14112                         // 000000008F8C: D81A3720 0000590F
	v_mfma_f32_16x16x16_bf16 a[236:239], a[150:151], v[76:77], a[236:239]// 000000008F94: D3E180EC 0FB29996
	s_mov_b64 exec, s[98:99]                                   // 000000008F9C: BEFE0162
	global_atomic_pk_add_bf16 v8, v139, s[32:33] offset:128    // 000000008FA0: DD488080 00208B08
	s_mov_b64 exec, s[92:93]                                   // 000000008FA8: BEFE015C
	v_mfma_f32_16x16x16_bf16 a[240:243], a[152:153], v[76:77], a[240:243]// 000000008FAC: D3E180F0 0FC29998
	ds_write_b32 v15, v90 offset:13184                         // 000000008FB4: D81A3380 00005A0F
	v_mfma_f32_16x16x16_bf16 a[244:247], a[154:155], v[76:77], a[244:247]// 000000008FBC: D3E180F4 0FD2999A
	v_mfma_f32_16x16x16_bf16 a[248:251], a[156:157], v[76:77], a[248:251]// 000000008FC4: D3E180F8 0FE2999C
	ds_write_b32 v15, v91 offset:14240                         // 000000008FCC: D81A37A0 00005B0F
	v_mfma_f32_16x16x16_bf16 a[252:255], a[158:159], v[76:77], a[252:255]// 000000008FD4: D3E180FC 0FF2999E
	s_waitcnt vmcnt(4) lgkmcnt(4)                              // 000000008FDC: BF8C0474
	s_barrier                                                  // 000000008FE0: BF8A0000
	v_mfma_f32_16x16x16_bf16 v[128:131], a[48:49], v[48:49], 0 // 000000008FE4: D3E10080 0A026130
	ds_read_b128 a[144:147], v12                               // 000000008FEC: DBFE0000 9000000C
	v_mov_b32_e32 v36, 0                                       // 000000008FF4: 7E480280
	s_mov_b64 exec, s[94:95]                                   // 000000008FF8: BEFE015E
	buffer_load_dword v36, v1, s[8:11], 0 idxen                // 000000008FFC: E0502000 80022401
	s_mov_b64 exec, s[92:93]                                   // 000000009004: BEFE015C
	v_mfma_f32_16x16x16_bf16 v[128:131], a[52:53], v[50:51], v[128:131]// 000000009008: D3E10080 0E026534
	v_mul_f32_e32 v124, s49, v124                              // 000000009010: 0AF8F831
	s_nop 0                                                    // 000000009014: BF800000
	v_mfma_f32_16x16x16_bf16 v[128:131], a[56:57], v[52:53], v[128:131]// 000000009018: D3E10080 0E026938
	ds_read_b128 a[148:151], v12 offset:512                    // 000000009020: DBFE0200 9400000C
	v_mov_b32_e32 v37, 0                                       // 000000009028: 7E4A0280
	s_mov_b64 exec, s[94:95]                                   // 00000000902C: BEFE015E
	buffer_load_dword v37, v2, s[8:11], 0 idxen                // 000000009030: E0502000 80022502
	s_mov_b64 exec, s[92:93]                                   // 000000009038: BEFE015C
	v_mfma_f32_16x16x16_bf16 v[128:131], a[60:61], v[54:55], v[128:131]// 00000000903C: D3E10080 0E026D3C
	v_mfma_f32_16x16x16_bf16 v[128:131], a[64:65], v[56:57], v[128:131]// 000000009044: D3E10080 0E027140
	ds_read_b128 a[152:155], v12 offset:2176                   // 00000000904C: DBFE0880 9800000C
	v_mov_b32_e32 v38, 0                                       // 000000009054: 7E4C0280
	s_mov_b64 exec, s[94:95]                                   // 000000009058: BEFE015E
	buffer_load_dword v38, v3, s[8:11], 0 idxen                // 00000000905C: E0502000 80022603
	s_mov_b64 exec, s[92:93]                                   // 000000009064: BEFE015C
	v_mfma_f32_16x16x16_bf16 v[128:131], a[68:69], v[58:59], v[128:131]// 000000009068: D3E10080 0E027544
	v_perm_b32 v84, v33, v32, s63                              // 000000009070: D1ED0054 00FE4121
	v_perm_b32 v85, v33, v32, s64                              // 000000009078: D1ED0055 01024121
	v_mfma_f32_16x16x16_bf16 v[128:131], a[72:73], v[60:61], v[128:131]// 000000009080: D3E10080 0E027948
	ds_read_b128 a[156:159], v12 offset:2688                   // 000000009088: DBFE0A80 9C00000C
	v_mov_b32_e32 v39, 0                                       // 000000009090: 7E4E0280
	s_mov_b64 exec, s[94:95]                                   // 000000009094: BEFE015E
	buffer_load_dword v39, v4, s[8:11], 0 idxen                // 000000009098: E0502000 80022704
	s_mov_b64 exec, s[92:93]                                   // 0000000090A0: BEFE015C
	v_mfma_f32_16x16x16_bf16 v[128:131], a[76:77], v[62:63], v[128:131]// 0000000090A4: D3E10080 0E027D4C
	v_perm_b32 v86, v35, v34, s63                              // 0000000090AC: D1ED0056 00FE4523
	v_perm_b32 v87, v35, v34, s64                              // 0000000090B4: D1ED0057 01024523
	v_mfma_f32_16x16x16_bf16 v[128:131], a[80:81], v[64:65], v[128:131]// 0000000090BC: D3E10080 0E028150
	ds_read_b128 v[92:95], v12 offset:8704                     // 0000000090C4: D9FE2200 5C00000C
	v_mov_b32_e32 v44, 0                                       // 0000000090CC: 7E580280
	s_mov_b64 exec, s[94:95]                                   // 0000000090D0: BEFE015E
	buffer_load_dword v44, v1, s[20:23], 0 idxen               // 0000000090D4: E0502000 80052C01
	s_mov_b64 exec, s[92:93]                                   // 0000000090DC: BEFE015C
	v_mfma_f32_16x16x16_bf16 v[128:131], a[84:85], v[66:67], v[128:131]// 0000000090E0: D3E10080 0E028554
	v_perm_b32 v88, v41, v40, s63                              // 0000000090E8: D1ED0058 00FE5129
	v_perm_b32 v89, v41, v40, s64                              // 0000000090F0: D1ED0059 01025129
	v_mfma_f32_16x16x16_bf16 v[128:131], a[88:89], v[68:69], v[128:131]// 0000000090F8: D3E10080 0E028958
	ds_read_b128 v[96:99], v12 offset:9216                     // 000000009100: D9FE2400 6000000C
	v_mov_b32_e32 v45, 0                                       // 000000009108: 7E5A0280
	s_mov_b64 exec, s[94:95]                                   // 00000000910C: BEFE015E
	buffer_load_dword v45, v2, s[20:23], 0 idxen               // 000000009110: E0502000 80052D02
	s_mov_b64 exec, s[92:93]                                   // 000000009118: BEFE015C
	v_mfma_f32_16x16x16_bf16 v[128:131], a[92:93], v[70:71], v[128:131]// 00000000911C: D3E10080 0E028D5C
	v_perm_b32 v90, v43, v42, s63                              // 000000009124: D1ED005A 00FE552B
	v_perm_b32 v91, v43, v42, s64                              // 00000000912C: D1ED005B 0102552B
	v_mfma_f32_16x16x16_bf16 v[132:135], a[50:51], v[48:49], 0 // 000000009134: D3E10084 0A026132
	ds_read_b128 v[100:103], v12 offset:10880                  // 00000000913C: D9FE2A80 6400000C
	v_mov_b32_e32 v46, 0                                       // 000000009144: 7E5C0280
	s_mov_b64 exec, s[94:95]                                   // 000000009148: BEFE015E
	buffer_load_dword v46, v3, s[20:23], 0 idxen               // 00000000914C: E0502000 80052E03
	s_mov_b64 exec, s[92:93]                                   // 000000009154: BEFE015C
	v_mfma_f32_16x16x16_bf16 v[132:135], a[54:55], v[50:51], v[132:135]// 000000009158: D3E10084 0E126536
	v_mov_b32_dpp v127, v124 quad_perm:[3,3,3,3] row_mask:0xf bank_mask:0xf// 000000009160: 7EFE02FA FF00FF7C
	v_mov_b32_dpp v126, v124 quad_perm:[2,2,2,2] row_mask:0xf bank_mask:0xf// 000000009168: 7EFC02FA FF00AA7C
	v_mfma_f32_16x16x16_bf16 v[132:135], a[58:59], v[52:53], v[132:135]// 000000009170: D3E10084 0E12693A
	ds_read_b128 v[104:107], v12 offset:11392                  // 000000009178: D9FE2C80 6800000C
	v_mov_b32_e32 v47, 0                                       // 000000009180: 7E5E0280
	s_mov_b64 exec, s[94:95]                                   // 000000009184: BEFE015E
	buffer_load_dword v47, v4, s[20:23], 0 idxen               // 000000009188: E0502000 80052F04
	s_mov_b64 exec, s[92:93]                                   // 000000009190: BEFE015C
	v_mfma_f32_16x16x16_bf16 v[132:135], a[62:63], v[54:55], v[132:135]// 000000009194: D3E10084 0E126D3E
	v_mov_b32_dpp v125, v124 quad_perm:[1,1,1,1] row_mask:0xf bank_mask:0xf// 00000000919C: 7EFA02FA FF00557C
	v_mov_b32_dpp v124, v124 quad_perm:[0,0,0,0] row_mask:0xf bank_mask:0xf// 0000000091A4: 7EF802FA FF00007C
	s_add_u32 s60, 64, s59                                     // 0000000091AC: 803C3BC0
	v_mfma_f32_16x16x16_bf16 v[132:135], a[66:67], v[56:57], v[132:135]// 0000000091B0: D3E10084 0E127142
	buffer_load_dword v11, s[24:27], 0 idxen lds               // 0000000091B8: E0512000 8006000B
	v_mfma_f32_16x16x16_bf16 v[132:135], a[70:71], v[58:59], v[132:135]// 0000000091C0: D3E10084 0E127546
	s_cmp_lt_u32 s60, s58                                      // 0000000091C8: BF0A3A3C
	s_cselect_b32 s68, s68, 0                                  // 0000000091CC: 85448044
	s_cselect_b32 s69, s69, 0                                  // 0000000091D0: 85458045
	v_mfma_f32_16x16x16_bf16 v[132:135], a[74:75], v[60:61], v[132:135]// 0000000091D4: D3E10084 0E12794A
	s_add_u32 s8, s68, s8                                      // 0000000091DC: 80080844
	s_addc_u32 s9, 0, s9                                       // 0000000091E0: 82090980
	v_mfma_f32_16x16x16_bf16 v[132:135], a[78:79], v[62:63], v[132:135]// 0000000091E4: D3E10084 0E127D4E
	s_add_u32 s20, s68, s20                                    // 0000000091EC: 80141444
	s_addc_u32 s21, 0, s21                                     // 0000000091F0: 82151580
	v_mfma_f32_16x16x16_bf16 v[132:135], a[82:83], v[64:65], v[132:135]// 0000000091F4: D3E10084 0E128152
	s_mov_b32 m0, s80                                          // 0000000091FC: BEFC0050
	v_add_u32_e32 v11, s69, v11                                // 000000009200: 68161645
	v_mfma_f32_16x16x16_bf16 v[132:135], a[86:87], v[66:67], v[132:135]// 000000009204: D3E10084 0E128556
	s_cmp_ge_u32 s59, s73                                      // 00000000920C: BF09493B
	s_cselect_b32 s66, s67, s66                                // 000000009210: 85424243
	v_mfma_f32_16x16x16_bf16 v[132:135], a[90:91], v[68:69], v[132:135]// 000000009214: D3E10084 0E12895A
	s_addk_i32 s59, 0x10                                       // 00000000921C: B73B0010
	s_nop 0                                                    // 000000009220: BF800000
	s_cmp_lt_i32 s59, s58                                      // 000000009224: BF043A3B
	v_mfma_f32_16x16x16_bf16 v[132:135], a[94:95], v[70:71], v[132:135]// 000000009228: D3E10084 0E128D5E
	s_cbranch_scc0 label_1132                                  // 000000009230: BF84FC25
	s_waitcnt lgkmcnt(4)                                       // 000000009234: BF8CC47F
	s_barrier                                                  // 000000009238: BF8A0000
	v_mfma_f32_16x16x16_bf16 v[48:51], a[144:145], a[0:1], 0   // 00000000923C: D3E10030 1A020190
	v_mul_f32_e32 v128, s48, v128                              // 000000009244: 0B010030
	v_mul_f32_e32 v129, s48, v129                              // 000000009248: 0B030230
	v_mfma_f32_16x16x16_bf16 v[48:51], a[146:147], a[2:3], v[48:51]// 00000000924C: D3E10030 1CC20592
	ds_write_b32 v13, v40 offset:8704                          // 000000009254: D81A2200 0000280D
	ds_write_b32 v13, v41 offset:9760                          // 00000000925C: D81A2620 0000290D
	v_mfma_f32_16x16x16_bf16 v[48:51], a[148:149], a[4:5], v[48:51]// 000000009264: D3E10030 1CC20994
	v_mul_f32_e32 v130, s48, v130                              // 00000000926C: 0B050430
	v_mul_f32_e32 v131, s48, v131                              // 000000009270: 0B070630
	v_mfma_f32_16x16x16_bf16 v[48:51], a[150:151], a[6:7], v[48:51]// 000000009274: D3E10030 1CC20D96
	ds_write_b32 v13, v42 offset:8832                          // 00000000927C: D81A2280 00002A0D
	ds_write_b32 v13, v43 offset:9888                          // 000000009284: D81A26A0 00002B0D
	v_mfma_f32_16x16x16_bf16 v[48:51], a[152:153], a[8:9], v[48:51]// 00000000928C: D3E10030 1CC21198
	v_mul_f32_e32 v132, s48, v132                              // 000000009294: 0B090830
	v_mul_f32_e32 v133, s48, v133                              // 000000009298: 0B0B0A30
	v_mfma_f32_16x16x16_bf16 v[48:51], a[154:155], a[10:11], v[48:51]// 00000000929C: D3E10030 1CC2159A
	v_mul_f32_e32 v134, s48, v134                              // 0000000092A4: 0B0D0C30
	v_mul_f32_e32 v135, s48, v135                              // 0000000092A8: 0B0F0E30
	v_mfma_f32_16x16x16_bf16 v[48:51], a[156:157], a[12:13], v[48:51]// 0000000092AC: D3E10030 1CC2199C
	v_cmp_u_f32_e64 s[78:79], v128, v128                       // 0000000092B4: D048004E 00030180
	v_bfe_u32 v248, v128, 16, 1                                // 0000000092BC: D1C800F8 02052180
	v_add3_u32 v248, v128, v248, v251                          // 0000000092C4: D1FF00F8 07EFF180
	v_cndmask_b32_e64 v28, v248, v250, s[78:79]                // 0000000092CC: D100001C 013BF5F8
	v_lshrrev_b32_e32 v28, 16, v28                             // 0000000092D4: 20383890
	v_cmp_u_f32_e64 s[78:79], v129, v129                       // 0000000092D8: D048004E 00030381
	v_bfe_u32 v248, v129, 16, 1                                // 0000000092E0: D1C800F8 02052181
	v_add3_u32 v248, v129, v248, v251                          // 0000000092E8: D1FF00F8 07EFF181
	v_cndmask_b32_e64 v29, v248, v250, s[78:79]                // 0000000092F0: D100001D 013BF5F8
	v_and_or_b32 v128, v29, v249, v28                          // 0000000092F8: D2010080 0473F31D
	v_cmp_u_f32_e64 s[78:79], v130, v130                       // 000000009300: D048004E 00030582
	v_bfe_u32 v248, v130, 16, 1                                // 000000009308: D1C800F8 02052182
	v_add3_u32 v248, v130, v248, v251                          // 000000009310: D1FF00F8 07EFF182
	v_cndmask_b32_e64 v28, v248, v250, s[78:79]                // 000000009318: D100001C 013BF5F8
	v_lshrrev_b32_e32 v28, 16, v28                             // 000000009320: 20383890
	v_cmp_u_f32_e64 s[78:79], v131, v131                       // 000000009324: D048004E 00030783
	v_bfe_u32 v248, v131, 16, 1                                // 00000000932C: D1C800F8 02052183
	v_add3_u32 v248, v131, v248, v251                          // 000000009334: D1FF00F8 07EFF183
	v_cndmask_b32_e64 v29, v248, v250, s[78:79]                // 00000000933C: D100001D 013BF5F8
	v_and_or_b32 v129, v29, v249, v28                          // 000000009344: D2010081 0473F31D
	v_mfma_f32_16x16x16_bf16 v[48:51], a[158:159], a[14:15], v[48:51]// 00000000934C: D3E10030 1CC21D9E
	v_cmp_u_f32_e64 s[78:79], v132, v132                       // 000000009354: D048004E 00030984
	v_bfe_u32 v248, v132, 16, 1                                // 00000000935C: D1C800F8 02052184
	v_add3_u32 v248, v132, v248, v251                          // 000000009364: D1FF00F8 07EFF184
	v_cndmask_b32_e64 v28, v248, v250, s[78:79]                // 00000000936C: D100001C 013BF5F8
	v_lshrrev_b32_e32 v28, 16, v28                             // 000000009374: 20383890
	v_cmp_u_f32_e64 s[78:79], v133, v133                       // 000000009378: D048004E 00030B85
	v_bfe_u32 v248, v133, 16, 1                                // 000000009380: D1C800F8 02052185
	v_add3_u32 v248, v133, v248, v251                          // 000000009388: D1FF00F8 07EFF185
	v_cndmask_b32_e64 v29, v248, v250, s[78:79]                // 000000009390: D100001D 013BF5F8
	v_and_or_b32 v130, v29, v249, v28                          // 000000009398: D2010082 0473F31D
	v_cmp_u_f32_e64 s[78:79], v134, v134                       // 0000000093A0: D048004E 00030D86
	v_bfe_u32 v248, v134, 16, 1                                // 0000000093A8: D1C800F8 02052186
	v_add3_u32 v248, v134, v248, v251                          // 0000000093B0: D1FF00F8 07EFF186
	v_cndmask_b32_e64 v28, v248, v250, s[78:79]                // 0000000093B8: D100001C 013BF5F8
	v_lshrrev_b32_e32 v28, 16, v28                             // 0000000093C0: 20383890
	v_cmp_u_f32_e64 s[78:79], v135, v135                       // 0000000093C4: D048004E 00030F87
	v_bfe_u32 v248, v135, 16, 1                                // 0000000093CC: D1C800F8 02052187
	v_add3_u32 v248, v135, v248, v251                          // 0000000093D4: D1FF00F8 07EFF187
	v_cndmask_b32_e64 v29, v248, v250, s[78:79]                // 0000000093DC: D100001D 013BF5F8
	v_and_or_b32 v131, v29, v249, v28                          // 0000000093E4: D2010083 0473F31D
	v_mfma_f32_16x16x16_bf16 v[52:55], a[144:145], a[16:17], 0 // 0000000093EC: D3E10034 1A022190
	v_mfma_f32_16x16x16_bf16 v[52:55], a[146:147], a[18:19], v[52:55]// 0000000093F4: D3E10034 1CD22592
	ds_write_b64 v22, v[128:129] offset:24320                  // 0000000093FC: D89A5F00 00008016
	v_mfma_f32_16x16x16_bf16 v[52:55], a[148:149], a[20:21], v[52:55]// 000000009404: D3E10034 1CD22994
	v_mfma_f32_16x16x16_bf16 v[52:55], a[150:151], a[22:23], v[52:55]// 00000000940C: D3E10034 1CD22D96
	ds_write_b64 v22, v[130:131] offset:24864                  // 000000009414: D89A6120 00008216
	v_mfma_f32_16x16x16_bf16 v[52:55], a[152:153], a[24:25], v[52:55]// 00000000941C: D3E10034 1CD23198
	v_mfma_f32_16x16x16_bf16 v[52:55], a[154:155], a[26:27], v[52:55]// 000000009424: D3E10034 1CD2359A
	ds_read_b128 v[108:111], v14 offset:13056                  // 00000000942C: D9FE3300 6C00000E
	ds_write_b32 v13, v32                                      // 000000009434: D81A0000 0000200D
	v_mfma_f32_16x16x16_bf16 v[52:55], a[156:157], a[28:29], v[52:55]// 00000000943C: D3E10034 1CD2399C
	v_mfma_f32_16x16x16_bf16 v[52:55], a[158:159], a[30:31], v[52:55]// 000000009444: D3E10034 1CD23D9E
	v_mfma_f32_16x16x16_bf16 v[56:59], a[144:145], a[32:33], 0 // 00000000944C: D3E10038 1A024190
	ds_read_b128 v[112:115], v14 offset:13568                  // 000000009454: D9FE3500 7000000E
	ds_write_b32 v13, v33 offset:1056                          // 00000000945C: D81A0420 0000210D
	v_mfma_f32_16x16x16_bf16 v[56:59], a[146:147], a[34:35], v[56:59]// 000000009464: D3E10038 1CE24592
	v_mfma_f32_16x16x16_bf16 v[56:59], a[148:149], a[36:37], v[56:59]// 00000000946C: D3E10038 1CE24994
	v_mfma_f32_16x16x16_bf16 v[56:59], a[150:151], a[38:39], v[56:59]// 000000009474: D3E10038 1CE24D96
	ds_read_b128 v[116:119], v14 offset:15232                  // 00000000947C: D9FE3B80 7400000E
	ds_write_b32 v13, v34 offset:128                           // 000000009484: D81A0080 0000220D
	v_mfma_f32_16x16x16_bf16 v[56:59], a[152:153], a[40:41], v[56:59]// 00000000948C: D3E10038 1CE25198
	v_mfma_f32_16x16x16_bf16 v[56:59], a[154:155], a[42:43], v[56:59]// 000000009494: D3E10038 1CE2559A
	v_mfma_f32_16x16x16_bf16 v[56:59], a[156:157], a[44:45], v[56:59]// 00000000949C: D3E10038 1CE2599C
	ds_read_b128 v[120:123], v14 offset:15744                  // 0000000094A4: D9FE3D80 7800000E
	ds_write_b32 v13, v35 offset:1184                          // 0000000094AC: D81A04A0 0000230D
	v_mfma_f32_16x16x16_bf16 v[56:59], a[158:159], a[46:47], v[56:59]// 0000000094B4: D3E10038 1CE25D9E
	s_cmp_lt_i32 s74, 12                                       // 0000000094BC: BF048C4A
	s_cbranch_scc0 label_1626                                  // 0000000094C0: BF840075
	s_mov_b32 s60, 0xffe0fffe                                  // 0000000094C4: BEBC00FF FFE0FFFE
	s_mov_b32 s61, 0xe000fe00                                  // 0000000094CC: BEBD00FF E000FE00
	s_nop 0                                                    // 0000000094D4: BF800000
	s_add_u32 s62, 0, s47                                      // 0000000094D8: 803E2F80
	s_cmp_lt_i32 s74, s62                                      // 0000000094DC: BF043E4A
	s_cbranch_scc1 label_15E1                                  // 0000000094E0: BF850028
	s_cmp_eq_i32 s74, s62                                      // 0000000094E4: BF003E4A
	s_cbranch_scc1 label_15C6                                  // 0000000094E8: BF85000B
	s_add_u32 s62, 4, s47                                      // 0000000094EC: 803E2F84
	s_cmp_lt_i32 s74, s62                                      // 0000000094F0: BF043E4A
	s_cbranch_scc1 label_1601                                  // 0000000094F4: BF850043
	s_cmp_eq_i32 s74, s62                                      // 0000000094F8: BF003E4A
	s_cbranch_scc1 label_15E6                                  // 0000000094FC: BF850026
	s_add_u32 s62, 8, s47                                      // 000000009500: 803E2F88
	s_cmp_lt_i32 s74, s62                                      // 000000009504: BF043E4A
	s_cbranch_scc1 label_1621                                  // 000000009508: BF85005E
	s_cmp_eq_i32 s74, s62                                      // 00000000950C: BF003E4A
	s_cbranch_scc1 label_1606                                  // 000000009510: BF850041
	s_branch label_1626                                        // 000000009514: BF820060

0000000000009518 <label_15C6>:
	v_cndmask_b32_e64 v48, v48, v151, s[60:61]                 // 000000009518: D1000030 00F32F30
	s_lshl_b32 s60, s60, 1                                     // 000000009520: 8E3C813C
	s_lshl_b32 s61, s61, 1                                     // 000000009524: 8E3D813D
	s_and_b32 s60, 0xfffeffff, s60                             // 000000009528: 863C3CFF FFFEFFFF
	s_and_b32 s61, 0xfffeffff, s61                             // 000000009530: 863D3DFF FFFEFFFF
	v_cndmask_b32_e64 v49, v49, v151, s[60:61]                 // 000000009538: D1000031 00F32F31
	s_lshl_b32 s60, s60, 1                                     // 000000009540: 8E3C813C
	s_lshl_b32 s61, s61, 1                                     // 000000009544: 8E3D813D
	s_and_b32 s60, 0xfffeffff, s60                             // 000000009548: 863C3CFF FFFEFFFF
	s_and_b32 s61, 0xfffeffff, s61                             // 000000009550: 863D3DFF FFFEFFFF
	v_cndmask_b32_e64 v50, v50, v151, s[60:61]                 // 000000009558: D1000032 00F32F32
	s_lshl_b32 s60, s60, 1                                     // 000000009560: 8E3C813C
	s_lshl_b32 s61, s61, 1                                     // 000000009564: 8E3D813D
	s_and_b32 s60, 0xfffeffff, s60                             // 000000009568: 863C3CFF FFFEFFFF
	s_and_b32 s61, 0xfffeffff, s61                             // 000000009570: 863D3DFF FFFEFFFF
	v_cndmask_b32_e64 v51, v51, v151, s[60:61]                 // 000000009578: D1000033 00F32F33
	s_branch label_1601                                        // 000000009580: BF820020

0000000000009584 <label_15E1>:
	v_mov_b32_e32 v48, v151                                    // 000000009584: 7E600397
	v_mov_b32_e32 v49, v151                                    // 000000009588: 7E620397
	v_mov_b32_e32 v50, v151                                    // 00000000958C: 7E640397
	v_mov_b32_e32 v51, v151                                    // 000000009590: 7E660397
	s_branch label_1601                                        // 000000009594: BF82001B

0000000000009598 <label_15E6>:
	v_cndmask_b32_e64 v52, v52, v151, s[60:61]                 // 000000009598: D1000034 00F32F34
	s_lshl_b32 s60, s60, 1                                     // 0000000095A0: 8E3C813C
	s_lshl_b32 s61, s61, 1                                     // 0000000095A4: 8E3D813D
	s_and_b32 s60, 0xfffeffff, s60                             // 0000000095A8: 863C3CFF FFFEFFFF
	s_and_b32 s61, 0xfffeffff, s61                             // 0000000095B0: 863D3DFF FFFEFFFF
	v_cndmask_b32_e64 v53, v53, v151, s[60:61]                 // 0000000095B8: D1000035 00F32F35
	s_lshl_b32 s60, s60, 1                                     // 0000000095C0: 8E3C813C
	s_lshl_b32 s61, s61, 1                                     // 0000000095C4: 8E3D813D
	s_and_b32 s60, 0xfffeffff, s60                             // 0000000095C8: 863C3CFF FFFEFFFF
	s_and_b32 s61, 0xfffeffff, s61                             // 0000000095D0: 863D3DFF FFFEFFFF
	v_cndmask_b32_e64 v54, v54, v151, s[60:61]                 // 0000000095D8: D1000036 00F32F36
	s_lshl_b32 s60, s60, 1                                     // 0000000095E0: 8E3C813C
	s_lshl_b32 s61, s61, 1                                     // 0000000095E4: 8E3D813D
	s_and_b32 s60, 0xfffeffff, s60                             // 0000000095E8: 863C3CFF FFFEFFFF
	s_and_b32 s61, 0xfffeffff, s61                             // 0000000095F0: 863D3DFF FFFEFFFF
	v_cndmask_b32_e64 v55, v55, v151, s[60:61]                 // 0000000095F8: D1000037 00F32F37
	s_branch label_1621                                        // 000000009600: BF820020

0000000000009604 <label_1601>:
	v_mov_b32_e32 v52, v151                                    // 000000009604: 7E680397
	v_mov_b32_e32 v53, v151                                    // 000000009608: 7E6A0397
	v_mov_b32_e32 v54, v151                                    // 00000000960C: 7E6C0397
	v_mov_b32_e32 v55, v151                                    // 000000009610: 7E6E0397
	s_branch label_1621                                        // 000000009614: BF82001B

0000000000009618 <label_1606>:
	v_cndmask_b32_e64 v56, v56, v151, s[60:61]                 // 000000009618: D1000038 00F32F38
	s_lshl_b32 s60, s60, 1                                     // 000000009620: 8E3C813C
	s_lshl_b32 s61, s61, 1                                     // 000000009624: 8E3D813D
	s_and_b32 s60, 0xfffeffff, s60                             // 000000009628: 863C3CFF FFFEFFFF
	s_and_b32 s61, 0xfffeffff, s61                             // 000000009630: 863D3DFF FFFEFFFF
	v_cndmask_b32_e64 v57, v57, v151, s[60:61]                 // 000000009638: D1000039 00F32F39
	s_lshl_b32 s60, s60, 1                                     // 000000009640: 8E3C813C
	s_lshl_b32 s61, s61, 1                                     // 000000009644: 8E3D813D
	s_and_b32 s60, 0xfffeffff, s60                             // 000000009648: 863C3CFF FFFEFFFF
	s_and_b32 s61, 0xfffeffff, s61                             // 000000009650: 863D3DFF FFFEFFFF
	v_cndmask_b32_e64 v58, v58, v151, s[60:61]                 // 000000009658: D100003A 00F32F3A
	s_lshl_b32 s60, s60, 1                                     // 000000009660: 8E3C813C
	s_lshl_b32 s61, s61, 1                                     // 000000009664: 8E3D813D
	s_and_b32 s60, 0xfffeffff, s60                             // 000000009668: 863C3CFF FFFEFFFF
	s_and_b32 s61, 0xfffeffff, s61                             // 000000009670: 863D3DFF FFFEFFFF
	v_cndmask_b32_e64 v59, v59, v151, s[60:61]                 // 000000009678: D100003B 00F32F3B
	s_branch label_1626                                        // 000000009680: BF820005

0000000000009684 <label_1621>:
	v_mov_b32_e32 v56, v151                                    // 000000009684: 7E700397
	v_mov_b32_e32 v57, v151                                    // 000000009688: 7E720397
	v_mov_b32_e32 v58, v151                                    // 00000000968C: 7E740397
	v_mov_b32_e32 v59, v151                                    // 000000009690: 7E760397
	s_branch label_1626                                        // 000000009694: BF820000

0000000000009698 <label_1626>:
	s_addk_i32 s74, 0x1                                        // 000000009698: B74A0001
	s_waitcnt lgkmcnt(8)                                       // 00000000969C: BF8CC87F
	s_barrier                                                  // 0000000096A0: BF8A0000
	v_mfma_f32_16x16x16_bf16 v[72:75], v[92:93], a[96:97], 0   // 0000000096A4: D3E10048 1202C15C
	v_fma_f32 v48, v48, s57, -v124                             // 0000000096AC: D1CB0030 85F07330
	v_fma_f32 v49, v49, s57, -v125                             // 0000000096B4: D1CB0031 85F47331
	v_fma_f32 v50, v50, s57, -v126                             // 0000000096BC: D1CB0032 85F87332
	v_mfma_f32_16x16x16_bf16 v[72:75], v[94:95], a[98:99], v[72:75]// 0000000096C4: D3E10048 1522C55E
	ds_read_b128 a[144:147], v14 offset:4352                   // 0000000096CC: DBFE1100 9000000E
	ds_read_b128 a[148:151], v14 offset:4864                   // 0000000096D4: DBFE1300 9400000E
	v_mfma_f32_16x16x16_bf16 v[72:75], v[96:97], a[100:101], v[72:75]// 0000000096DC: D3E10048 1522C960
	v_fma_f32 v51, v51, s57, -v127                             // 0000000096E4: D1CB0033 85FC7333
	v_fma_f32 v52, v52, s57, -v124                             // 0000000096EC: D1CB0034 85F07334
	v_fma_f32 v53, v53, s57, -v125                             // 0000000096F4: D1CB0035 85F47335
	v_mfma_f32_16x16x16_bf16 v[72:75], v[98:99], a[102:103], v[72:75]// 0000000096FC: D3E10048 1522CD62
	v_fma_f32 v54, v54, s57, -v126                             // 000000009704: D1CB0036 85F87336
	v_fma_f32 v55, v55, s57, -v127                             // 00000000970C: D1CB0037 85FC7337
	v_fma_f32 v56, v56, s57, -v124                             // 000000009714: D1CB0038 85F07338
	v_mfma_f32_16x16x16_bf16 v[72:75], v[100:101], a[104:105], v[72:75]// 00000000971C: D3E10048 1522D164
	v_fma_f32 v57, v57, s57, -v125                             // 000000009724: D1CB0039 85F47339
	v_fma_f32 v58, v58, s57, -v126                             // 00000000972C: D1CB003A 85F8733A
	v_fma_f32 v59, v59, s57, -v127                             // 000000009734: D1CB003B 85FC733B
	v_mfma_f32_16x16x16_bf16 v[72:75], v[102:103], a[106:107], v[72:75]// 00000000973C: D3E10048 1522D566
	ds_read_b128 a[152:155], v14 offset:6528                   // 000000009744: DBFE1980 9800000E
	ds_read_b128 a[156:159], v14 offset:7040                   // 00000000974C: DBFE1B80 9C00000E
	v_mfma_f32_16x16x16_bf16 v[72:75], v[104:105], a[108:109], v[72:75]// 000000009754: D3E10048 1522D968
	v_exp_f32_e32 v48, v48                                     // 00000000975C: 7E604130
	v_mfma_f32_16x16x16_bf16 v[72:75], v[106:107], a[110:111], v[72:75]// 000000009760: D3E10048 1522DD6A
	v_exp_f32_e32 v49, v49                                     // 000000009768: 7E624131
	v_mfma_f32_16x16x16_bf16 v[76:79], v[92:93], a[112:113], 0 // 00000000976C: D3E1004C 1202E15C
	v_exp_f32_e32 v50, v50                                     // 000000009774: 7E644132
	v_mfma_f32_16x16x16_bf16 v[76:79], v[94:95], a[114:115], v[76:79]// 000000009778: D3E1004C 1532E55E
	ds_read_b32 v136, v21 offset:24320                         // 000000009780: D86C5F00 88000015
	ds_read_b32 v137, v21 offset:24336                         // 000000009788: D86C5F10 89000015
	v_mfma_f32_16x16x16_bf16 v[76:79], v[96:97], a[116:117], v[76:79]// 000000009790: D3E1004C 1532E960
	v_exp_f32_e32 v51, v51                                     // 000000009798: 7E664133
	v_mfma_f32_16x16x16_bf16 v[76:79], v[98:99], a[118:119], v[76:79]// 00000000979C: D3E1004C 1532ED62
	ds_read_b32 v138, v21 offset:26496                         // 0000000097A4: D86C6780 8A000015
	ds_read_b32 v139, v21 offset:26512                         // 0000000097AC: D86C6790 8B000015
	v_mfma_f32_16x16x16_bf16 v[76:79], v[100:101], a[120:121], v[76:79]// 0000000097B4: D3E1004C 1532F164
	v_exp_f32_e32 v52, v52                                     // 0000000097BC: 7E684134
	v_mfma_f32_16x16x16_bf16 v[76:79], v[102:103], a[122:123], v[76:79]// 0000000097C0: D3E1004C 1532F566
	v_exp_f32_e32 v53, v53                                     // 0000000097C8: 7E6A4135
	v_mfma_f32_16x16x16_bf16 v[76:79], v[104:105], a[124:125], v[76:79]// 0000000097CC: D3E1004C 1532F968
	v_exp_f32_e32 v54, v54                                     // 0000000097D4: 7E6C4136
	v_mfma_f32_16x16x16_bf16 v[76:79], v[106:107], a[126:127], v[76:79]// 0000000097D8: D3E1004C 1532FD6A
	v_exp_f32_e32 v55, v55                                     // 0000000097E0: 7E6E4137
	v_mfma_f32_16x16x16_bf16 v[80:83], v[92:93], a[128:129], 0 // 0000000097E4: D3E10050 1203015C
	v_exp_f32_e32 v56, v56                                     // 0000000097EC: 7E704138
	v_mfma_f32_16x16x16_bf16 v[80:83], v[94:95], a[130:131], v[80:83]// 0000000097F0: D3E10050 1543055E
	v_exp_f32_e32 v57, v57                                     // 0000000097F8: 7E724139
	v_mfma_f32_16x16x16_bf16 v[80:83], v[96:97], a[132:133], v[80:83]// 0000000097FC: D3E10050 15430960
	v_exp_f32_e32 v58, v58                                     // 000000009804: 7E74413A
	v_mfma_f32_16x16x16_bf16 v[80:83], v[98:99], a[134:135], v[80:83]// 000000009808: D3E10050 15430D62
	v_exp_f32_e32 v59, v59                                     // 000000009810: 7E76413B
	v_mfma_f32_16x16x16_bf16 v[80:83], v[100:101], a[136:137], v[80:83]// 000000009814: D3E10050 15431164
	v_cmp_u_f32_e64 s[78:79], v48, v48                         // 00000000981C: D048004E 00026130
	v_bfe_u32 v248, v48, 16, 1                                 // 000000009824: D1C800F8 02052130
	v_add3_u32 v248, v48, v248, v251                           // 00000000982C: D1FF00F8 07EFF130
	v_cndmask_b32_e64 v28, v248, v250, s[78:79]                // 000000009834: D100001C 013BF5F8
	v_lshrrev_b32_e32 v28, 16, v28                             // 00000000983C: 20383890
	v_cmp_u_f32_e64 s[78:79], v49, v49                         // 000000009840: D048004E 00026331
	v_bfe_u32 v248, v49, 16, 1                                 // 000000009848: D1C800F8 02052131
	v_add3_u32 v248, v49, v248, v251                           // 000000009850: D1FF00F8 07EFF131
	v_cndmask_b32_e64 v29, v248, v250, s[78:79]                // 000000009858: D100001D 013BF5F8
	v_and_or_b32 v144, v29, v249, v28                          // 000000009860: D2010090 0473F31D
	v_cmp_u_f32_e64 s[78:79], v50, v50                         // 000000009868: D048004E 00026532
	v_bfe_u32 v248, v50, 16, 1                                 // 000000009870: D1C800F8 02052132
	v_add3_u32 v248, v50, v248, v251                           // 000000009878: D1FF00F8 07EFF132
	v_cndmask_b32_e64 v28, v248, v250, s[78:79]                // 000000009880: D100001C 013BF5F8
	v_lshrrev_b32_e32 v28, 16, v28                             // 000000009888: 20383890
	v_cmp_u_f32_e64 s[78:79], v51, v51                         // 00000000988C: D048004E 00026733
	v_bfe_u32 v248, v51, 16, 1                                 // 000000009894: D1C800F8 02052133
	v_add3_u32 v248, v51, v248, v251                           // 00000000989C: D1FF00F8 07EFF133
	v_cndmask_b32_e64 v29, v248, v250, s[78:79]                // 0000000098A4: D100001D 013BF5F8
	v_and_or_b32 v145, v29, v249, v28                          // 0000000098AC: D2010091 0473F31D
	v_cmp_u_f32_e64 s[78:79], v52, v52                         // 0000000098B4: D048004E 00026934
	v_bfe_u32 v248, v52, 16, 1                                 // 0000000098BC: D1C800F8 02052134
	v_add3_u32 v248, v52, v248, v251                           // 0000000098C4: D1FF00F8 07EFF134
	v_cndmask_b32_e64 v28, v248, v250, s[78:79]                // 0000000098CC: D100001C 013BF5F8
	v_lshrrev_b32_e32 v28, 16, v28                             // 0000000098D4: 20383890
	v_cmp_u_f32_e64 s[78:79], v53, v53                         // 0000000098D8: D048004E 00026B35
	v_bfe_u32 v248, v53, 16, 1                                 // 0000000098E0: D1C800F8 02052135
	v_add3_u32 v248, v53, v248, v251                           // 0000000098E8: D1FF00F8 07EFF135
	v_cndmask_b32_e64 v29, v248, v250, s[78:79]                // 0000000098F0: D100001D 013BF5F8
	v_and_or_b32 v146, v29, v249, v28                          // 0000000098F8: D2010092 0473F31D
	v_mfma_f32_16x16x16_bf16 v[80:83], v[102:103], a[138:139], v[80:83]// 000000009900: D3E10050 15431566
	v_cmp_u_f32_e64 s[78:79], v54, v54                         // 000000009908: D048004E 00026D36
	v_bfe_u32 v248, v54, 16, 1                                 // 000000009910: D1C800F8 02052136
	v_add3_u32 v248, v54, v248, v251                           // 000000009918: D1FF00F8 07EFF136
	v_cndmask_b32_e64 v28, v248, v250, s[78:79]                // 000000009920: D100001C 013BF5F8
	v_lshrrev_b32_e32 v28, 16, v28                             // 000000009928: 20383890
	v_cmp_u_f32_e64 s[78:79], v55, v55                         // 00000000992C: D048004E 00026F37
	v_bfe_u32 v248, v55, 16, 1                                 // 000000009934: D1C800F8 02052137
	v_add3_u32 v248, v55, v248, v251                           // 00000000993C: D1FF00F8 07EFF137
	v_cndmask_b32_e64 v29, v248, v250, s[78:79]                // 000000009944: D100001D 013BF5F8
	v_and_or_b32 v147, v29, v249, v28                          // 00000000994C: D2010093 0473F31D
	v_cmp_u_f32_e64 s[78:79], v56, v56                         // 000000009954: D048004E 00027138
	v_bfe_u32 v248, v56, 16, 1                                 // 00000000995C: D1C800F8 02052138
	v_add3_u32 v248, v56, v248, v251                           // 000000009964: D1FF00F8 07EFF138
	v_cndmask_b32_e64 v28, v248, v250, s[78:79]                // 00000000996C: D100001C 013BF5F8
	v_lshrrev_b32_e32 v28, 16, v28                             // 000000009974: 20383890
	v_cmp_u_f32_e64 s[78:79], v57, v57                         // 000000009978: D048004E 00027339
	v_bfe_u32 v248, v57, 16, 1                                 // 000000009980: D1C800F8 02052139
	v_add3_u32 v248, v57, v248, v251                           // 000000009988: D1FF00F8 07EFF139
	v_cndmask_b32_e64 v29, v248, v250, s[78:79]                // 000000009990: D100001D 013BF5F8
	v_and_or_b32 v148, v29, v249, v28                          // 000000009998: D2010094 0473F31D
	v_cmp_u_f32_e64 s[78:79], v58, v58                         // 0000000099A0: D048004E 0002753A
	v_bfe_u32 v248, v58, 16, 1                                 // 0000000099A8: D1C800F8 0205213A
	v_add3_u32 v248, v58, v248, v251                           // 0000000099B0: D1FF00F8 07EFF13A
	v_cndmask_b32_e64 v28, v248, v250, s[78:79]                // 0000000099B8: D100001C 013BF5F8
	v_lshrrev_b32_e32 v28, 16, v28                             // 0000000099C0: 20383890
	v_cmp_u_f32_e64 s[78:79], v59, v59                         // 0000000099C4: D048004E 0002773B
	v_bfe_u32 v248, v59, 16, 1                                 // 0000000099CC: D1C800F8 0205213B
	v_add3_u32 v248, v59, v248, v251                           // 0000000099D4: D1FF00F8 07EFF13B
	v_cndmask_b32_e64 v29, v248, v250, s[78:79]                // 0000000099DC: D100001D 013BF5F8
	v_and_or_b32 v149, v29, v249, v28                          // 0000000099E4: D2010095 0473F31D
	v_mfma_f32_16x16x16_bf16 v[80:83], v[104:105], a[140:141], v[80:83]// 0000000099EC: D3E10050 15431968
	s_add_u32 s32, s66, s32                                    // 0000000099F4: 80202042
	s_addc_u32 s33, 0, s33                                     // 0000000099F8: 82212180
	v_mfma_f32_16x16x16_bf16 v[80:83], v[106:107], a[142:143], v[80:83]// 0000000099FC: D3E10050 15431D6A
	s_waitcnt lgkmcnt(0)                                       // 000000009A04: BF8CC07F
	s_barrier                                                  // 000000009A08: BF8A0000
	v_mfma_f32_16x16x16_bf16 v[152:155], v[108:109], v[144:145], v[152:155]// 000000009A0C: D3E10098 0663216C
	v_subrev_f32_dpp v72, v150, v72 quad_perm:[0,0,0,0] row_mask:0xf bank_mask:0xf// 000000009A14: 069090FA FF000096
	v_subrev_f32_dpp v73, v150, v73 quad_perm:[1,1,1,1] row_mask:0xf bank_mask:0xf// 000000009A1C: 069292FA FF005596
	v_subrev_f32_dpp v74, v150, v74 quad_perm:[2,2,2,2] row_mask:0xf bank_mask:0xf// 000000009A24: 069494FA FF00AA96
	v_mfma_f32_16x16x16_bf16 v[156:159], v[110:111], v[144:145], v[156:159]// 000000009A2C: D3E1009C 0673216E
	v_subrev_f32_dpp v75, v150, v75 quad_perm:[3,3,3,3] row_mask:0xf bank_mask:0xf// 000000009A34: 069696FA FF00FF96
	v_subrev_f32_dpp v76, v150, v76 quad_perm:[0,0,0,0] row_mask:0xf bank_mask:0xf// 000000009A3C: 069898FA FF000096
	v_subrev_f32_dpp v77, v150, v77 quad_perm:[1,1,1,1] row_mask:0xf bank_mask:0xf// 000000009A44: 069A9AFA FF005596
	v_mfma_f32_16x16x16_bf16 v[160:163], v[112:113], v[144:145], v[160:163]// 000000009A4C: D3E100A0 06832170
	v_mul_f32_e32 v72, v48, v72                                // 000000009A54: 0A909130
	v_mul_f32_e32 v73, v49, v73                                // 000000009A58: 0A929331
	v_mul_f32_e32 v74, v50, v74                                // 000000009A5C: 0A949532
	v_mfma_f32_16x16x16_bf16 v[164:167], v[114:115], v[144:145], v[164:167]// 000000009A60: D3E100A4 06932172
	v_mul_f32_e32 v75, v51, v75                                // 000000009A68: 0A969733
	v_mul_f32_e32 v76, v52, v76                                // 000000009A6C: 0A989934
	v_mul_f32_e32 v77, v53, v77                                // 000000009A70: 0A9A9B35
	v_mfma_f32_16x16x16_bf16 v[168:171], v[116:117], v[144:145], v[168:171]// 000000009A74: D3E100A8 06A32174
	v_cmp_u_f32_e64 s[78:79], v72, v72                         // 000000009A7C: D048004E 00029148
	v_bfe_u32 v248, v72, 16, 1                                 // 000000009A84: D1C800F8 02052148
	v_add3_u32 v248, v72, v248, v251                           // 000000009A8C: D1FF00F8 07EFF148
	v_cndmask_b32_e64 v28, v248, v250, s[78:79]                // 000000009A94: D100001C 013BF5F8
	v_lshrrev_b32_e32 v28, 16, v28                             // 000000009A9C: 20383890
	v_cmp_u_f32_e64 s[78:79], v73, v73                         // 000000009AA0: D048004E 00029349
	v_bfe_u32 v248, v73, 16, 1                                 // 000000009AA8: D1C800F8 02052149
	v_add3_u32 v248, v73, v248, v251                           // 000000009AB0: D1FF00F8 07EFF149
	v_cndmask_b32_e64 v29, v248, v250, s[78:79]                // 000000009AB8: D100001D 013BF5F8
	v_and_or_b32 v72, v29, v249, v28                           // 000000009AC0: D2010048 0473F31D
	v_cmp_u_f32_e64 s[78:79], v74, v74                         // 000000009AC8: D048004E 0002954A
	v_bfe_u32 v248, v74, 16, 1                                 // 000000009AD0: D1C800F8 0205214A
	v_add3_u32 v248, v74, v248, v251                           // 000000009AD8: D1FF00F8 07EFF14A
	v_cndmask_b32_e64 v28, v248, v250, s[78:79]                // 000000009AE0: D100001C 013BF5F8
	v_lshrrev_b32_e32 v28, 16, v28                             // 000000009AE8: 20383890
	v_cmp_u_f32_e64 s[78:79], v75, v75                         // 000000009AEC: D048004E 0002974B
	v_bfe_u32 v248, v75, 16, 1                                 // 000000009AF4: D1C800F8 0205214B
	v_add3_u32 v248, v75, v248, v251                           // 000000009AFC: D1FF00F8 07EFF14B
	v_cndmask_b32_e64 v29, v248, v250, s[78:79]                // 000000009B04: D100001D 013BF5F8
	v_and_or_b32 v73, v29, v249, v28                           // 000000009B0C: D2010049 0473F31D
	v_cmp_u_f32_e64 s[78:79], v76, v76                         // 000000009B14: D048004E 0002994C
	v_bfe_u32 v248, v76, 16, 1                                 // 000000009B1C: D1C800F8 0205214C
	v_add3_u32 v248, v76, v248, v251                           // 000000009B24: D1FF00F8 07EFF14C
	v_cndmask_b32_e64 v28, v248, v250, s[78:79]                // 000000009B2C: D100001C 013BF5F8
	v_lshrrev_b32_e32 v28, 16, v28                             // 000000009B34: 20383890
	v_cmp_u_f32_e64 s[78:79], v77, v77                         // 000000009B38: D048004E 00029B4D
	v_bfe_u32 v248, v77, 16, 1                                 // 000000009B40: D1C800F8 0205214D
	v_add3_u32 v248, v77, v248, v251                           // 000000009B48: D1FF00F8 07EFF14D
	v_cndmask_b32_e64 v29, v248, v250, s[78:79]                // 000000009B50: D100001D 013BF5F8
	v_and_or_b32 v74, v29, v249, v28                           // 000000009B58: D201004A 0473F31D
	v_mfma_f32_16x16x16_bf16 v[172:175], v[118:119], v[144:145], v[172:175]// 000000009B60: D3E100AC 06B32176
	v_mov_b32_dpp v18, v72 quad_perm:[1,0,3,2] row_mask:0xf bank_mask:0xf// 000000009B68: 7E2402FA FF00B148
	v_perm_b32 v48, v18, v72, v17                              // 000000009B70: D1ED0030 04469112
	v_mov_b32_dpp v18, v73 quad_perm:[1,0,3,2] row_mask:0xf bank_mask:0xf// 000000009B78: 7E2402FA FF00B149
	v_mfma_f32_16x16x16_bf16 v[176:179], v[120:121], v[144:145], v[176:179]// 000000009B80: D3E100B0 06C32178
	ds_write_b32 v20, v48 offset:17408                         // 000000009B88: D81A4400 00003014
	v_mfma_f32_16x16x16_bf16 v[180:183], v[122:123], v[144:145], v[180:183]// 000000009B90: D3E100B4 06D3217A
	v_perm_b32 v49, v18, v73, v17                              // 000000009B98: D1ED0031 04469312
	v_mov_b32_dpp v18, v74 quad_perm:[1,0,3,2] row_mask:0xf bank_mask:0xf// 000000009BA0: 7E2402FA FF00B14A
	v_perm_b32 v50, v18, v74, v17                              // 000000009BA8: D1ED0032 04469512
	v_mfma_f32_16x16x16_bf16 v[184:187], v[108:109], v[146:147], v[184:187]// 000000009BB0: D3E100B8 06E3256C
	ds_write_b32 v20, v49 offset:17952                         // 000000009BB8: D81A4620 00003114
	v_mfma_f32_16x16x16_bf16 v[188:191], v[110:111], v[146:147], v[188:191]// 000000009BC0: D3E100BC 06F3256E
	v_subrev_f32_dpp v78, v150, v78 quad_perm:[2,2,2,2] row_mask:0xf bank_mask:0xf// 000000009BC8: 069C9CFA FF00AA96
	v_subrev_f32_dpp v79, v150, v79 quad_perm:[3,3,3,3] row_mask:0xf bank_mask:0xf// 000000009BD0: 069E9EFA FF00FF96
	v_subrev_f32_dpp v80, v150, v80 quad_perm:[0,0,0,0] row_mask:0xf bank_mask:0xf// 000000009BD8: 06A0A0FA FF000096
	v_mfma_f32_16x16x16_bf16 v[192:195], v[112:113], v[146:147], v[192:195]// 000000009BE0: D3E100C0 07032570
	ds_write_b32 v20, v50 offset:19712                         // 000000009BE8: D81A4D00 00003214
	v_mfma_f32_16x16x16_bf16 v[196:199], v[114:115], v[146:147], v[196:199]// 000000009BF0: D3E100C4 07132572
	v_subrev_f32_dpp v81, v150, v81 quad_perm:[1,1,1,1] row_mask:0xf bank_mask:0xf// 000000009BF8: 06A2A2FA FF005596
	v_subrev_f32_dpp v82, v150, v82 quad_perm:[2,2,2,2] row_mask:0xf bank_mask:0xf// 000000009C00: 06A4A4FA FF00AA96
	v_subrev_f32_dpp v83, v150, v83 quad_perm:[3,3,3,3] row_mask:0xf bank_mask:0xf// 000000009C08: 06A6A6FA FF00FF96
	v_mfma_f32_16x16x16_bf16 v[200:203], v[116:117], v[146:147], v[200:203]// 000000009C10: D3E100C8 07232574
	v_mul_f32_e32 v78, v54, v78                                // 000000009C18: 0A9C9D36
	v_mul_f32_e32 v79, v55, v79                                // 000000009C1C: 0A9E9F37
	v_mul_f32_e32 v80, v56, v80                                // 000000009C20: 0AA0A138
	v_mfma_f32_16x16x16_bf16 v[204:207], v[118:119], v[146:147], v[204:207]// 000000009C24: D3E100CC 07332576
	v_mul_f32_e32 v81, v57, v81                                // 000000009C2C: 0AA2A339
	v_mul_f32_e32 v82, v58, v82                                // 000000009C30: 0AA4A53A
	v_mul_f32_e32 v83, v59, v83                                // 000000009C34: 0AA6A73B
	v_mfma_f32_16x16x16_bf16 v[208:211], v[120:121], v[146:147], v[208:211]// 000000009C38: D3E100D0 07432578
	v_cmp_u_f32_e64 s[78:79], v78, v78                         // 000000009C40: D048004E 00029D4E
	v_bfe_u32 v248, v78, 16, 1                                 // 000000009C48: D1C800F8 0205214E
	v_add3_u32 v248, v78, v248, v251                           // 000000009C50: D1FF00F8 07EFF14E
	v_cndmask_b32_e64 v28, v248, v250, s[78:79]                // 000000009C58: D100001C 013BF5F8
	v_lshrrev_b32_e32 v28, 16, v28                             // 000000009C60: 20383890
	v_cmp_u_f32_e64 s[78:79], v79, v79                         // 000000009C64: D048004E 00029F4F
	v_bfe_u32 v248, v79, 16, 1                                 // 000000009C6C: D1C800F8 0205214F
	v_add3_u32 v248, v79, v248, v251                           // 000000009C74: D1FF00F8 07EFF14F
	v_cndmask_b32_e64 v29, v248, v250, s[78:79]                // 000000009C7C: D100001D 013BF5F8
	v_and_or_b32 v75, v29, v249, v28                           // 000000009C84: D201004B 0473F31D
	v_cmp_u_f32_e64 s[78:79], v80, v80                         // 000000009C8C: D048004E 0002A150
	v_bfe_u32 v248, v80, 16, 1                                 // 000000009C94: D1C800F8 02052150
	v_add3_u32 v248, v80, v248, v251                           // 000000009C9C: D1FF00F8 07EFF150
	v_cndmask_b32_e64 v28, v248, v250, s[78:79]                // 000000009CA4: D100001C 013BF5F8
	v_lshrrev_b32_e32 v28, 16, v28                             // 000000009CAC: 20383890
	v_cmp_u_f32_e64 s[78:79], v81, v81                         // 000000009CB0: D048004E 0002A351
	v_bfe_u32 v248, v81, 16, 1                                 // 000000009CB8: D1C800F8 02052151
	v_add3_u32 v248, v81, v248, v251                           // 000000009CC0: D1FF00F8 07EFF151
	v_cndmask_b32_e64 v29, v248, v250, s[78:79]                // 000000009CC8: D100001D 013BF5F8
	v_and_or_b32 v76, v29, v249, v28                           // 000000009CD0: D201004C 0473F31D
	v_cmp_u_f32_e64 s[78:79], v82, v82                         // 000000009CD8: D048004E 0002A552
	v_bfe_u32 v248, v82, 16, 1                                 // 000000009CE0: D1C800F8 02052152
	v_add3_u32 v248, v82, v248, v251                           // 000000009CE8: D1FF00F8 07EFF152
	v_cndmask_b32_e64 v28, v248, v250, s[78:79]                // 000000009CF0: D100001C 013BF5F8
	v_lshrrev_b32_e32 v28, 16, v28                             // 000000009CF8: 20383890
	v_cmp_u_f32_e64 s[78:79], v83, v83                         // 000000009CFC: D048004E 0002A753
	v_bfe_u32 v248, v83, 16, 1                                 // 000000009D04: D1C800F8 02052153
	v_add3_u32 v248, v83, v248, v251                           // 000000009D0C: D1FF00F8 07EFF153
	v_cndmask_b32_e64 v29, v248, v250, s[78:79]                // 000000009D14: D100001D 013BF5F8
	v_and_or_b32 v77, v29, v249, v28                           // 000000009D1C: D201004D 0473F31D
	v_mfma_f32_16x16x16_bf16 v[212:215], v[122:123], v[146:147], v[212:215]// 000000009D24: D3E100D4 0753257A
	v_mov_b32_dpp v18, v75 quad_perm:[1,0,3,2] row_mask:0xf bank_mask:0xf// 000000009D2C: 7E2402FA FF00B14B
	v_perm_b32 v51, v18, v75, v17                              // 000000009D34: D1ED0033 04469712
	v_mov_b32_dpp v18, v76 quad_perm:[1,0,3,2] row_mask:0xf bank_mask:0xf// 000000009D3C: 7E2402FA FF00B14C
	v_mfma_f32_16x16x16_bf16 v[216:219], v[108:109], v[148:149], v[216:219]// 000000009D44: D3E100D8 0763296C
	ds_write_b32 v20, v51 offset:20256                         // 000000009D4C: D81A4F20 00003314
	v_mfma_f32_16x16x16_bf16 v[220:223], v[110:111], v[148:149], v[220:223]// 000000009D54: D3E100DC 0773296E
	v_perm_b32 v52, v18, v76, v17                              // 000000009D5C: D1ED0034 04469912
	v_mov_b32_dpp v18, v77 quad_perm:[1,0,3,2] row_mask:0xf bank_mask:0xf// 000000009D64: 7E2402FA FF00B14D
	v_perm_b32 v53, v18, v77, v17                              // 000000009D6C: D1ED0035 04469B12
	v_mfma_f32_16x16x16_bf16 v[224:227], v[112:113], v[148:149], v[224:227]// 000000009D74: D3E100E0 07832970
	ds_write_b32 v20, v52 offset:22016                         // 000000009D7C: D81A5600 00003414
	ds_write_b32 v20, v53 offset:22560                         // 000000009D84: D81A5820 00003514
	v_mfma_f32_16x16x16_bf16 v[228:231], v[114:115], v[148:149], v[228:231]// 000000009D8C: D3E100E4 07932972
	v_mfma_f32_16x16x16_bf16 v[232:235], v[116:117], v[148:149], v[232:235]// 000000009D94: D3E100E8 07A32974
	ds_write_b32 v15, v84 offset:4352                          // 000000009D9C: D81A1100 0000540F
	ds_write_b32 v15, v85 offset:5408                          // 000000009DA4: D81A1520 0000550F
	v_mfma_f32_16x16x16_bf16 v[236:239], v[118:119], v[148:149], v[236:239]// 000000009DAC: D3E100EC 07B32976
	v_mfma_f32_16x16x16_bf16 v[240:243], v[120:121], v[148:149], v[240:243]// 000000009DB4: D3E100F0 07C32978
	ds_write_b32 v15, v86 offset:4480                          // 000000009DBC: D81A1180 0000560F
	ds_write_b32 v15, v87 offset:5536                          // 000000009DC4: D81A15A0 0000570F
	v_mfma_f32_16x16x16_bf16 v[244:247], v[122:123], v[148:149], v[244:247]// 000000009DCC: D3E100F4 07D3297A
	s_nop 0                                                    // 000000009DD4: BF800000
	s_nop 0                                                    // 000000009DD8: BF800000
	s_nop 0                                                    // 000000009DDC: BF800000
	s_barrier                                                  // 000000009DE0: BF8A0000
	v_mfma_f32_16x16x16_bf16 a[160:163], a[144:145], v[72:73], a[160:163]// 000000009DE4: D3E180A0 0E829190
	ds_read_b32 v124, v23 offset:50688                         // 000000009DEC: D86CC600 7C000017
	ds_read_b32 v150, v23 offset:50944                         // 000000009DF4: D86CC700 96000017
	v_mfma_f32_16x16x16_bf16 a[164:167], a[146:147], v[72:73], a[164:167]// 000000009DFC: D3E180A4 0E929192
	global_atomic_pk_add_bf16 v6, v136, s[32:33]               // 000000009E04: DD488000 00208806
	v_mfma_f32_16x16x16_bf16 a[168:171], a[148:149], v[72:73], a[168:171]// 000000009E0C: D3E180A8 0EA29194
	s_waitcnt lgkmcnt(6)                                       // 000000009E14: BF8CC67F
	s_barrier                                                  // 000000009E18: BF8A0000
	v_mfma_f32_16x16x16_bf16 a[172:175], a[150:151], v[72:73], a[172:175]// 000000009E1C: D3E180AC 0EB29196
	v_mfma_f32_16x16x16_bf16 a[176:179], a[152:153], v[72:73], a[176:179]// 000000009E24: D3E180B0 0EC29198
	ds_read_b128 v[48:51], v19 offset:17408                    // 000000009E2C: D9FE4400 30000013
	v_mfma_f32_16x16x16_bf16 a[180:183], a[154:155], v[72:73], a[180:183]// 000000009E34: D3E180B4 0ED2919A
	v_mfma_f32_16x16x16_bf16 a[184:187], a[156:157], v[72:73], a[184:187]// 000000009E3C: D3E180B8 0EE2919C
	ds_read_b128 v[52:55], v19 offset:18560                    // 000000009E44: D9FE4880 34000013
	v_mfma_f32_16x16x16_bf16 a[188:191], a[158:159], v[72:73], a[188:191]// 000000009E4C: D3E180BC 0EF2919E
	global_atomic_pk_add_bf16 v8, v137, s[32:33]               // 000000009E54: DD488000 00208908
	v_mfma_f32_16x16x16_bf16 a[192:195], a[144:145], v[74:75], a[192:195]// 000000009E5C: D3E180C0 0F029590
	ds_read_b128 v[56:59], v19 offset:19712                    // 000000009E64: D9FE4D00 38000013
	v_mfma_f32_16x16x16_bf16 a[196:199], a[146:147], v[74:75], a[196:199]// 000000009E6C: D3E180C4 0F129592
	v_mfma_f32_16x16x16_bf16 a[200:203], a[148:149], v[74:75], a[200:203]// 000000009E74: D3E180C8 0F229594
	ds_read_b128 v[60:63], v19 offset:20864                    // 000000009E7C: D9FE5180 3C000013
	v_mfma_f32_16x16x16_bf16 a[204:207], a[150:151], v[74:75], a[204:207]// 000000009E84: D3E180CC 0F329596
	v_mfma_f32_16x16x16_bf16 a[208:211], a[152:153], v[74:75], a[208:211]// 000000009E8C: D3E180D0 0F429598
	ds_read_b128 v[64:67], v19 offset:22016                    // 000000009E94: D9FE5600 40000013
	v_mfma_f32_16x16x16_bf16 a[212:215], a[154:155], v[74:75], a[212:215]// 000000009E9C: D3E180D4 0F52959A
	s_mov_b64 exec, s[98:99]                                   // 000000009EA4: BEFE0162
	global_atomic_pk_add_bf16 v6, v138, s[32:33] offset:128    // 000000009EA8: DD488080 00208A06
	s_mov_b64 exec, s[92:93]                                   // 000000009EB0: BEFE015C
	v_mfma_f32_16x16x16_bf16 a[216:219], a[156:157], v[74:75], a[216:219]// 000000009EB4: D3E180D8 0F62959C
	ds_read_b128 v[68:71], v19 offset:23168                    // 000000009EBC: D9FE5A80 44000013
	v_mfma_f32_16x16x16_bf16 a[220:223], a[158:159], v[74:75], a[220:223]// 000000009EC4: D3E180DC 0F72959E
	v_mfma_f32_16x16x16_bf16 a[224:227], a[144:145], v[76:77], a[224:227]// 000000009ECC: D3E180E0 0F829990
	ds_write_b32 v15, v88 offset:13056                         // 000000009ED4: D81A3300 0000580F
	v_mfma_f32_16x16x16_bf16 a[228:231], a[146:147], v[76:77], a[228:231]// 000000009EDC: D3E180E4 0F929992
	v_mfma_f32_16x16x16_bf16 a[232:235], a[148:149], v[76:77], a[232:235]// 000000009EE4: D3E180E8 0FA29994
	ds_write_b32 v15, v89 offset:14112                         // 000000009EEC: D81A3720 0000590F
	v_mfma_f32_16x16x16_bf16 a[236:239], a[150:151], v[76:77], a[236:239]// 000000009EF4: D3E180EC 0FB29996
	s_mov_b64 exec, s[98:99]                                   // 000000009EFC: BEFE0162
	global_atomic_pk_add_bf16 v8, v139, s[32:33] offset:128    // 000000009F00: DD488080 00208B08
	s_mov_b64 exec, s[92:93]                                   // 000000009F08: BEFE015C
	v_mfma_f32_16x16x16_bf16 a[240:243], a[152:153], v[76:77], a[240:243]// 000000009F0C: D3E180F0 0FC29998
	ds_write_b32 v15, v90 offset:13184                         // 000000009F14: D81A3380 00005A0F
	v_mfma_f32_16x16x16_bf16 a[244:247], a[154:155], v[76:77], a[244:247]// 000000009F1C: D3E180F4 0FD2999A
	v_mfma_f32_16x16x16_bf16 a[248:251], a[156:157], v[76:77], a[248:251]// 000000009F24: D3E180F8 0FE2999C
	ds_write_b32 v15, v91 offset:14240                         // 000000009F2C: D81A37A0 00005B0F
	v_mfma_f32_16x16x16_bf16 a[252:255], a[158:159], v[76:77], a[252:255]// 000000009F34: D3E180FC 0FF2999E
	s_waitcnt vmcnt(4) lgkmcnt(4)                              // 000000009F3C: BF8C0474
	s_barrier                                                  // 000000009F40: BF8A0000
	v_mfma_f32_16x16x16_bf16 v[128:131], a[48:49], v[48:49], 0 // 000000009F44: D3E10080 0A026130
	ds_read_b128 a[144:147], v12                               // 000000009F4C: DBFE0000 9000000C
	v_mov_b32_e32 v32, 0                                       // 000000009F54: 7E400280
	s_mov_b64 exec, s[94:95]                                   // 000000009F58: BEFE015E
	buffer_load_dword v32, v1, s[8:11], 0 idxen                // 000000009F5C: E0502000 80022001
	s_mov_b64 exec, s[92:93]                                   // 000000009F64: BEFE015C
	v_mfma_f32_16x16x16_bf16 v[128:131], a[52:53], v[50:51], v[128:131]// 000000009F68: D3E10080 0E026534
	v_mul_f32_e32 v124, s49, v124                              // 000000009F70: 0AF8F831
	s_nop 0                                                    // 000000009F74: BF800000
	v_mfma_f32_16x16x16_bf16 v[128:131], a[56:57], v[52:53], v[128:131]// 000000009F78: D3E10080 0E026938
	ds_read_b128 a[148:151], v12 offset:512                    // 000000009F80: DBFE0200 9400000C
	v_mov_b32_e32 v33, 0                                       // 000000009F88: 7E420280
	s_mov_b64 exec, s[94:95]                                   // 000000009F8C: BEFE015E
	buffer_load_dword v33, v2, s[8:11], 0 idxen                // 000000009F90: E0502000 80022102
	s_mov_b64 exec, s[92:93]                                   // 000000009F98: BEFE015C
	v_mfma_f32_16x16x16_bf16 v[128:131], a[60:61], v[54:55], v[128:131]// 000000009F9C: D3E10080 0E026D3C
	v_mfma_f32_16x16x16_bf16 v[128:131], a[64:65], v[56:57], v[128:131]// 000000009FA4: D3E10080 0E027140
	ds_read_b128 a[152:155], v12 offset:2176                   // 000000009FAC: DBFE0880 9800000C
	v_mov_b32_e32 v34, 0                                       // 000000009FB4: 7E440280
	s_mov_b64 exec, s[94:95]                                   // 000000009FB8: BEFE015E
	buffer_load_dword v34, v3, s[8:11], 0 idxen                // 000000009FBC: E0502000 80022203
	s_mov_b64 exec, s[92:93]                                   // 000000009FC4: BEFE015C
	v_mfma_f32_16x16x16_bf16 v[128:131], a[68:69], v[58:59], v[128:131]// 000000009FC8: D3E10080 0E027544
	v_perm_b32 v84, v37, v36, s63                              // 000000009FD0: D1ED0054 00FE4925
	v_perm_b32 v85, v37, v36, s64                              // 000000009FD8: D1ED0055 01024925
	v_mfma_f32_16x16x16_bf16 v[128:131], a[72:73], v[60:61], v[128:131]// 000000009FE0: D3E10080 0E027948
	ds_read_b128 a[156:159], v12 offset:2688                   // 000000009FE8: DBFE0A80 9C00000C
	v_mov_b32_e32 v35, 0                                       // 000000009FF0: 7E460280
	s_mov_b64 exec, s[94:95]                                   // 000000009FF4: BEFE015E
	buffer_load_dword v35, v4, s[8:11], 0 idxen                // 000000009FF8: E0502000 80022304
	s_mov_b64 exec, s[92:93]                                   // 00000000A000: BEFE015C
	v_mfma_f32_16x16x16_bf16 v[128:131], a[76:77], v[62:63], v[128:131]// 00000000A004: D3E10080 0E027D4C
	v_perm_b32 v86, v39, v38, s63                              // 00000000A00C: D1ED0056 00FE4D27
	v_perm_b32 v87, v39, v38, s64                              // 00000000A014: D1ED0057 01024D27
	v_mfma_f32_16x16x16_bf16 v[128:131], a[80:81], v[64:65], v[128:131]// 00000000A01C: D3E10080 0E028150
	ds_read_b128 v[92:95], v12 offset:8704                     // 00000000A024: D9FE2200 5C00000C
	v_mov_b32_e32 v40, 0                                       // 00000000A02C: 7E500280
	s_mov_b64 exec, s[94:95]                                   // 00000000A030: BEFE015E
	buffer_load_dword v40, v1, s[20:23], 0 idxen               // 00000000A034: E0502000 80052801
	s_mov_b64 exec, s[92:93]                                   // 00000000A03C: BEFE015C
	v_mfma_f32_16x16x16_bf16 v[128:131], a[84:85], v[66:67], v[128:131]// 00000000A040: D3E10080 0E028554
	v_perm_b32 v88, v45, v44, s63                              // 00000000A048: D1ED0058 00FE592D
	v_perm_b32 v89, v45, v44, s64                              // 00000000A050: D1ED0059 0102592D
	v_mfma_f32_16x16x16_bf16 v[128:131], a[88:89], v[68:69], v[128:131]// 00000000A058: D3E10080 0E028958
	ds_read_b128 v[96:99], v12 offset:9216                     // 00000000A060: D9FE2400 6000000C
	v_mov_b32_e32 v41, 0                                       // 00000000A068: 7E520280
	s_mov_b64 exec, s[94:95]                                   // 00000000A06C: BEFE015E
	buffer_load_dword v41, v2, s[20:23], 0 idxen               // 00000000A070: E0502000 80052902
	s_mov_b64 exec, s[92:93]                                   // 00000000A078: BEFE015C
	v_mfma_f32_16x16x16_bf16 v[128:131], a[92:93], v[70:71], v[128:131]// 00000000A07C: D3E10080 0E028D5C
	v_perm_b32 v90, v47, v46, s63                              // 00000000A084: D1ED005A 00FE5D2F
	v_perm_b32 v91, v47, v46, s64                              // 00000000A08C: D1ED005B 01025D2F
	v_mfma_f32_16x16x16_bf16 v[132:135], a[50:51], v[48:49], 0 // 00000000A094: D3E10084 0A026132
	ds_read_b128 v[100:103], v12 offset:10880                  // 00000000A09C: D9FE2A80 6400000C
	v_mov_b32_e32 v42, 0                                       // 00000000A0A4: 7E540280
	s_mov_b64 exec, s[94:95]                                   // 00000000A0A8: BEFE015E
	buffer_load_dword v42, v3, s[20:23], 0 idxen               // 00000000A0AC: E0502000 80052A03
	s_mov_b64 exec, s[92:93]                                   // 00000000A0B4: BEFE015C
	v_mfma_f32_16x16x16_bf16 v[132:135], a[54:55], v[50:51], v[132:135]// 00000000A0B8: D3E10084 0E126536
	v_mov_b32_dpp v127, v124 quad_perm:[3,3,3,3] row_mask:0xf bank_mask:0xf// 00000000A0C0: 7EFE02FA FF00FF7C
	v_mov_b32_dpp v126, v124 quad_perm:[2,2,2,2] row_mask:0xf bank_mask:0xf// 00000000A0C8: 7EFC02FA FF00AA7C
	v_mfma_f32_16x16x16_bf16 v[132:135], a[58:59], v[52:53], v[132:135]// 00000000A0D0: D3E10084 0E12693A
	ds_read_b128 v[104:107], v12 offset:11392                  // 00000000A0D8: D9FE2C80 6800000C
	v_mov_b32_e32 v43, 0                                       // 00000000A0E0: 7E560280
	s_mov_b64 exec, s[94:95]                                   // 00000000A0E4: BEFE015E
	buffer_load_dword v43, v4, s[20:23], 0 idxen               // 00000000A0E8: E0502000 80052B04
	s_mov_b64 exec, s[92:93]                                   // 00000000A0F0: BEFE015C
	v_mfma_f32_16x16x16_bf16 v[132:135], a[62:63], v[54:55], v[132:135]// 00000000A0F4: D3E10084 0E126D3E
	v_mov_b32_dpp v125, v124 quad_perm:[1,1,1,1] row_mask:0xf bank_mask:0xf// 00000000A0FC: 7EFA02FA FF00557C
	v_mov_b32_dpp v124, v124 quad_perm:[0,0,0,0] row_mask:0xf bank_mask:0xf// 00000000A104: 7EF802FA FF00007C
	s_add_u32 s60, 64, s59                                     // 00000000A10C: 803C3BC0
	v_mfma_f32_16x16x16_bf16 v[132:135], a[66:67], v[56:57], v[132:135]// 00000000A110: D3E10084 0E127142
	buffer_load_dword v11, s[24:27], 0 idxen lds               // 00000000A118: E0512000 8006000B
	v_mfma_f32_16x16x16_bf16 v[132:135], a[70:71], v[58:59], v[132:135]// 00000000A120: D3E10084 0E127546
	s_cmp_lt_u32 s60, s58                                      // 00000000A128: BF0A3A3C
	s_cselect_b32 s68, s68, 0                                  // 00000000A12C: 85448044
	s_cselect_b32 s69, s69, 0                                  // 00000000A130: 85458045
	v_mfma_f32_16x16x16_bf16 v[132:135], a[74:75], v[60:61], v[132:135]// 00000000A134: D3E10084 0E12794A
	s_add_u32 s8, s68, s8                                      // 00000000A13C: 80080844
	s_addc_u32 s9, 0, s9                                       // 00000000A140: 82090980
	v_mfma_f32_16x16x16_bf16 v[132:135], a[78:79], v[62:63], v[132:135]// 00000000A144: D3E10084 0E127D4E
	s_add_u32 s20, s68, s20                                    // 00000000A14C: 80141444
	s_addc_u32 s21, 0, s21                                     // 00000000A150: 82151580
	v_mfma_f32_16x16x16_bf16 v[132:135], a[82:83], v[64:65], v[132:135]// 00000000A154: D3E10084 0E128152
	s_mov_b32 m0, s81                                          // 00000000A15C: BEFC0051
	v_add_u32_e32 v11, s69, v11                                // 00000000A160: 68161645
	v_mfma_f32_16x16x16_bf16 v[132:135], a[86:87], v[66:67], v[132:135]// 00000000A164: D3E10084 0E128556
	s_cmp_ge_u32 s59, s73                                      // 00000000A16C: BF09493B
	s_cselect_b32 s66, s67, s66                                // 00000000A170: 85424243
	v_mfma_f32_16x16x16_bf16 v[132:135], a[90:91], v[68:69], v[132:135]// 00000000A174: D3E10084 0E12895A
	s_addk_i32 s59, 0x10                                       // 00000000A17C: B73B0010
	s_nop 0                                                    // 00000000A180: BF800000
	s_cmp_lt_i32 s59, s58                                      // 00000000A184: BF043A3B
	v_mfma_f32_16x16x16_bf16 v[132:135], a[94:95], v[70:71], v[132:135]// 00000000A188: D3E10084 0E128D5E
	s_cbranch_scc0 label_1132                                  // 00000000A190: BF84F84D
	s_branch label_1135                                        // 00000000A194: BF82F84F

000000000000a198 <label_18E6>:
	s_add_u32 s32, s66, s32                                    // 00000000A198: 80202042
	s_addc_u32 s33, 0, s33                                     // 00000000A19C: 82212180
	v_lshrrev_b32_e32 v28, 5, v0                               // 00000000A1A0: 20380085
	v_mul_i32_i24_e32 v27, 0x42, v28                           // 00000000A1A4: 0C3638FF 00000042
	v_and_b32_e32 v28, 31, v0                                  // 00000000A1AC: 2638009F
	v_mul_i32_i24_e32 v29, 2, v28                              // 00000000A1B0: 0C3A3882
	v_add_u32_e32 v27, v29, v27                                // 00000000A1B4: 6836371D
	s_mul_i32 s60, s47, 0x420                                  // 00000000A1B8: 923CFF2F 00000420
	v_add_u32_e32 v27, s60, v27                                // 00000000A1C0: 6836363C
	v_lshlrev_b32_e32 v27, 2, v27                              // 00000000A1C4: 24363682
	v_mul_f32_e32 v128, s48, v128                              // 00000000A1C8: 0B010030
	v_mul_f32_e32 v129, s48, v129                              // 00000000A1CC: 0B030230
	v_mul_f32_e32 v130, s48, v130                              // 00000000A1D0: 0B050430
	v_mul_f32_e32 v131, s48, v131                              // 00000000A1D4: 0B070630
	v_mul_f32_e32 v132, s48, v132                              // 00000000A1D8: 0B090830
	v_mul_f32_e32 v133, s48, v133                              // 00000000A1DC: 0B0B0A30
	v_mul_f32_e32 v134, s48, v134                              // 00000000A1E0: 0B0D0C30
	v_mul_f32_e32 v135, s48, v135                              // 00000000A1E4: 0B0F0E30
	v_cmp_u_f32_e64 s[78:79], v128, v128                       // 00000000A1E8: D048004E 00030180
	v_bfe_u32 v248, v128, 16, 1                                // 00000000A1F0: D1C800F8 02052180
	v_add3_u32 v248, v128, v248, v251                          // 00000000A1F8: D1FF00F8 07EFF180
	v_cndmask_b32_e64 v28, v248, v250, s[78:79]                // 00000000A200: D100001C 013BF5F8
	v_lshrrev_b32_e32 v28, 16, v28                             // 00000000A208: 20383890
	v_cmp_u_f32_e64 s[78:79], v129, v129                       // 00000000A20C: D048004E 00030381
	v_bfe_u32 v248, v129, 16, 1                                // 00000000A214: D1C800F8 02052181
	v_add3_u32 v248, v129, v248, v251                          // 00000000A21C: D1FF00F8 07EFF181
	v_cndmask_b32_e64 v29, v248, v250, s[78:79]                // 00000000A224: D100001D 013BF5F8
	v_and_or_b32 v128, v29, v249, v28                          // 00000000A22C: D2010080 0473F31D
	v_cmp_u_f32_e64 s[78:79], v130, v130                       // 00000000A234: D048004E 00030582
	v_bfe_u32 v248, v130, 16, 1                                // 00000000A23C: D1C800F8 02052182
	v_add3_u32 v248, v130, v248, v251                          // 00000000A244: D1FF00F8 07EFF182
	v_cndmask_b32_e64 v28, v248, v250, s[78:79]                // 00000000A24C: D100001C 013BF5F8
	v_lshrrev_b32_e32 v28, 16, v28                             // 00000000A254: 20383890
	v_cmp_u_f32_e64 s[78:79], v131, v131                       // 00000000A258: D048004E 00030783
	v_bfe_u32 v248, v131, 16, 1                                // 00000000A260: D1C800F8 02052183
	v_add3_u32 v248, v131, v248, v251                          // 00000000A268: D1FF00F8 07EFF183
	v_cndmask_b32_e64 v29, v248, v250, s[78:79]                // 00000000A270: D100001D 013BF5F8
	v_and_or_b32 v129, v29, v249, v28                          // 00000000A278: D2010081 0473F31D
	v_cmp_u_f32_e64 s[78:79], v132, v132                       // 00000000A280: D048004E 00030984
	v_bfe_u32 v248, v132, 16, 1                                // 00000000A288: D1C800F8 02052184
	v_add3_u32 v248, v132, v248, v251                          // 00000000A290: D1FF00F8 07EFF184
	v_cndmask_b32_e64 v28, v248, v250, s[78:79]                // 00000000A298: D100001C 013BF5F8
	v_lshrrev_b32_e32 v28, 16, v28                             // 00000000A2A0: 20383890
	v_cmp_u_f32_e64 s[78:79], v133, v133                       // 00000000A2A4: D048004E 00030B85
	v_bfe_u32 v248, v133, 16, 1                                // 00000000A2AC: D1C800F8 02052185
	v_add3_u32 v248, v133, v248, v251                          // 00000000A2B4: D1FF00F8 07EFF185
	v_cndmask_b32_e64 v29, v248, v250, s[78:79]                // 00000000A2BC: D100001D 013BF5F8
	v_and_or_b32 v130, v29, v249, v28                          // 00000000A2C4: D2010082 0473F31D
	v_cmp_u_f32_e64 s[78:79], v134, v134                       // 00000000A2CC: D048004E 00030D86
	v_bfe_u32 v248, v134, 16, 1                                // 00000000A2D4: D1C800F8 02052186
	v_add3_u32 v248, v134, v248, v251                          // 00000000A2DC: D1FF00F8 07EFF186
	v_cndmask_b32_e64 v28, v248, v250, s[78:79]                // 00000000A2E4: D100001C 013BF5F8
	v_lshrrev_b32_e32 v28, 16, v28                             // 00000000A2EC: 20383890
	v_cmp_u_f32_e64 s[78:79], v135, v135                       // 00000000A2F0: D048004E 00030F87
	v_bfe_u32 v248, v135, 16, 1                                // 00000000A2F8: D1C800F8 02052187
	v_add3_u32 v248, v135, v248, v251                          // 00000000A300: D1FF00F8 07EFF187
	v_cndmask_b32_e64 v29, v248, v250, s[78:79]                // 00000000A308: D100001D 013BF5F8
	v_and_or_b32 v131, v29, v249, v28                          // 00000000A310: D2010083 0473F31D
	ds_write_b64 v22, v[128:129] offset:24320                  // 00000000A318: D89A5F00 00008016
	ds_write_b64 v22, v[130:131] offset:24864                  // 00000000A320: D89A6120 00008216
	s_waitcnt lgkmcnt(0)                                       // 00000000A328: BF8CC07F
	s_barrier                                                  // 00000000A32C: BF8A0000
	ds_read_b32 v136, v21 offset:24320                         // 00000000A330: D86C5F00 88000015
	ds_read_b32 v137, v21 offset:24336                         // 00000000A338: D86C5F10 89000015
	ds_read_b32 v138, v21 offset:26496                         // 00000000A340: D86C6780 8A000015
	ds_read_b32 v139, v21 offset:26512                         // 00000000A348: D86C6790 8B000015
	s_waitcnt lgkmcnt(0)                                       // 00000000A350: BF8CC07F
	s_barrier                                                  // 00000000A354: BF8A0000
	global_atomic_pk_add_bf16 v6, v136, s[32:33]               // 00000000A358: DD488000 00208806
	global_atomic_pk_add_bf16 v8, v137, s[32:33]               // 00000000A360: DD488000 00208908
	s_mov_b64 exec, s[98:99]                                   // 00000000A368: BEFE0162
	global_atomic_pk_add_bf16 v6, v138, s[32:33] offset:128    // 00000000A36C: DD488080 00208A06
	s_mov_b64 exec, s[92:93]                                   // 00000000A374: BEFE015C
	s_mov_b64 exec, s[98:99]                                   // 00000000A378: BEFE0162
	global_atomic_pk_add_bf16 v8, v139, s[32:33] offset:128    // 00000000A37C: DD488080 00208B08
	s_mov_b64 exec, s[92:93]                                   // 00000000A384: BEFE015C
	v_lshrrev_b32_e32 v28, 4, v0                               // 00000000A388: 20380084
	v_mul_i32_i24_e32 v26, 2, v28                              // 00000000A38C: 0C343882
	v_and_b32_e32 v28, 15, v0                                  // 00000000A390: 2638008F
	v_mul_i32_i24_e32 v29, 0x42, v28                           // 00000000A394: 0C3A38FF 00000042
	v_add_u32_e32 v26, v29, v26                                // 00000000A39C: 6834351D
	s_mul_i32 s60, s47, 0x420                                  // 00000000A3A0: 923CFF2F 00000420
	v_add_u32_e32 v26, s60, v26                                // 00000000A3A8: 6834343C
	v_lshlrev_b32_e32 v26, 2, v26                              // 00000000A3AC: 24343482
	v_accvgpr_read_b32 v30, a160                               // 00000000A3B0: D3D8401E 180001A0
	v_accvgpr_read_b32 v31, a161                               // 00000000A3B8: D3D8401F 180001A1
	v_mul_f32_e32 v30, s48, v30                                // 00000000A3C0: 0A3C3C30
	v_mul_f32_e32 v31, s48, v31                                // 00000000A3C4: 0A3E3E30
	v_cmp_u_f32_e64 s[78:79], v30, v30                         // 00000000A3C8: D048004E 00023D1E
	v_bfe_u32 v248, v30, 16, 1                                 // 00000000A3D0: D1C800F8 0205211E
	v_add3_u32 v248, v30, v248, v251                           // 00000000A3D8: D1FF00F8 07EFF11E
	v_cndmask_b32_e64 v28, v248, v250, s[78:79]                // 00000000A3E0: D100001C 013BF5F8
	v_lshrrev_b32_e32 v28, 16, v28                             // 00000000A3E8: 20383890
	v_cmp_u_f32_e64 s[78:79], v31, v31                         // 00000000A3EC: D048004E 00023F1F
	v_bfe_u32 v248, v31, 16, 1                                 // 00000000A3F4: D1C800F8 0205211F
	v_add3_u32 v248, v31, v248, v251                           // 00000000A3FC: D1FF00F8 07EFF11F
	v_cndmask_b32_e64 v29, v248, v250, s[78:79]                // 00000000A404: D100001D 013BF5F8
	v_and_or_b32 v48, v29, v249, v28                           // 00000000A40C: D2010030 0473F31D
	v_accvgpr_read_b32 v30, a162                               // 00000000A414: D3D8401E 180001A2
	v_accvgpr_read_b32 v31, a163                               // 00000000A41C: D3D8401F 180001A3
	v_mul_f32_e32 v30, s48, v30                                // 00000000A424: 0A3C3C30
	v_mul_f32_e32 v31, s48, v31                                // 00000000A428: 0A3E3E30
	v_cmp_u_f32_e64 s[78:79], v30, v30                         // 00000000A42C: D048004E 00023D1E
	v_bfe_u32 v248, v30, 16, 1                                 // 00000000A434: D1C800F8 0205211E
	v_add3_u32 v248, v30, v248, v251                           // 00000000A43C: D1FF00F8 07EFF11E
	v_cndmask_b32_e64 v28, v248, v250, s[78:79]                // 00000000A444: D100001C 013BF5F8
	v_lshrrev_b32_e32 v28, 16, v28                             // 00000000A44C: 20383890
	v_cmp_u_f32_e64 s[78:79], v31, v31                         // 00000000A450: D048004E 00023F1F
	v_bfe_u32 v248, v31, 16, 1                                 // 00000000A458: D1C800F8 0205211F
	v_add3_u32 v248, v31, v248, v251                           // 00000000A460: D1FF00F8 07EFF11F
	v_cndmask_b32_e64 v29, v248, v250, s[78:79]                // 00000000A468: D100001D 013BF5F8
	v_and_or_b32 v49, v29, v249, v28                           // 00000000A470: D2010031 0473F31D
	v_accvgpr_read_b32 v30, a164                               // 00000000A478: D3D8401E 180001A4
	v_accvgpr_read_b32 v31, a165                               // 00000000A480: D3D8401F 180001A5
	v_mul_f32_e32 v30, s48, v30                                // 00000000A488: 0A3C3C30
	v_mul_f32_e32 v31, s48, v31                                // 00000000A48C: 0A3E3E30
	v_cmp_u_f32_e64 s[78:79], v30, v30                         // 00000000A490: D048004E 00023D1E
	v_bfe_u32 v248, v30, 16, 1                                 // 00000000A498: D1C800F8 0205211E
	v_add3_u32 v248, v30, v248, v251                           // 00000000A4A0: D1FF00F8 07EFF11E
	v_cndmask_b32_e64 v28, v248, v250, s[78:79]                // 00000000A4A8: D100001C 013BF5F8
	v_lshrrev_b32_e32 v28, 16, v28                             // 00000000A4B0: 20383890
	v_cmp_u_f32_e64 s[78:79], v31, v31                         // 00000000A4B4: D048004E 00023F1F
	v_bfe_u32 v248, v31, 16, 1                                 // 00000000A4BC: D1C800F8 0205211F
	v_add3_u32 v248, v31, v248, v251                           // 00000000A4C4: D1FF00F8 07EFF11F
	v_cndmask_b32_e64 v29, v248, v250, s[78:79]                // 00000000A4CC: D100001D 013BF5F8
	v_and_or_b32 v50, v29, v249, v28                           // 00000000A4D4: D2010032 0473F31D
	v_accvgpr_read_b32 v30, a166                               // 00000000A4DC: D3D8401E 180001A6
	v_accvgpr_read_b32 v31, a167                               // 00000000A4E4: D3D8401F 180001A7
	v_mul_f32_e32 v30, s48, v30                                // 00000000A4EC: 0A3C3C30
	v_mul_f32_e32 v31, s48, v31                                // 00000000A4F0: 0A3E3E30
	v_cmp_u_f32_e64 s[78:79], v30, v30                         // 00000000A4F4: D048004E 00023D1E
	v_bfe_u32 v248, v30, 16, 1                                 // 00000000A4FC: D1C800F8 0205211E
	v_add3_u32 v248, v30, v248, v251                           // 00000000A504: D1FF00F8 07EFF11E
	v_cndmask_b32_e64 v28, v248, v250, s[78:79]                // 00000000A50C: D100001C 013BF5F8
	v_lshrrev_b32_e32 v28, 16, v28                             // 00000000A514: 20383890
	v_cmp_u_f32_e64 s[78:79], v31, v31                         // 00000000A518: D048004E 00023F1F
	v_bfe_u32 v248, v31, 16, 1                                 // 00000000A520: D1C800F8 0205211F
	v_add3_u32 v248, v31, v248, v251                           // 00000000A528: D1FF00F8 07EFF11F
	v_cndmask_b32_e64 v29, v248, v250, s[78:79]                // 00000000A530: D100001D 013BF5F8
	v_and_or_b32 v51, v29, v249, v28                           // 00000000A538: D2010033 0473F31D
	v_accvgpr_read_b32 v30, a168                               // 00000000A540: D3D8401E 180001A8
	v_accvgpr_read_b32 v31, a169                               // 00000000A548: D3D8401F 180001A9
	v_mul_f32_e32 v30, s48, v30                                // 00000000A550: 0A3C3C30
	v_mul_f32_e32 v31, s48, v31                                // 00000000A554: 0A3E3E30
	v_cmp_u_f32_e64 s[78:79], v30, v30                         // 00000000A558: D048004E 00023D1E
	v_bfe_u32 v248, v30, 16, 1                                 // 00000000A560: D1C800F8 0205211E
	v_add3_u32 v248, v30, v248, v251                           // 00000000A568: D1FF00F8 07EFF11E
	v_cndmask_b32_e64 v28, v248, v250, s[78:79]                // 00000000A570: D100001C 013BF5F8
	v_lshrrev_b32_e32 v28, 16, v28                             // 00000000A578: 20383890
	v_cmp_u_f32_e64 s[78:79], v31, v31                         // 00000000A57C: D048004E 00023F1F
	v_bfe_u32 v248, v31, 16, 1                                 // 00000000A584: D1C800F8 0205211F
	v_add3_u32 v248, v31, v248, v251                           // 00000000A58C: D1FF00F8 07EFF11F
	v_cndmask_b32_e64 v29, v248, v250, s[78:79]                // 00000000A594: D100001D 013BF5F8
	v_and_or_b32 v52, v29, v249, v28                           // 00000000A59C: D2010034 0473F31D
	v_accvgpr_read_b32 v30, a170                               // 00000000A5A4: D3D8401E 180001AA
	v_accvgpr_read_b32 v31, a171                               // 00000000A5AC: D3D8401F 180001AB
	v_mul_f32_e32 v30, s48, v30                                // 00000000A5B4: 0A3C3C30
	v_mul_f32_e32 v31, s48, v31                                // 00000000A5B8: 0A3E3E30
	v_cmp_u_f32_e64 s[78:79], v30, v30                         // 00000000A5BC: D048004E 00023D1E
	v_bfe_u32 v248, v30, 16, 1                                 // 00000000A5C4: D1C800F8 0205211E
	v_add3_u32 v248, v30, v248, v251                           // 00000000A5CC: D1FF00F8 07EFF11E
	v_cndmask_b32_e64 v28, v248, v250, s[78:79]                // 00000000A5D4: D100001C 013BF5F8
	v_lshrrev_b32_e32 v28, 16, v28                             // 00000000A5DC: 20383890
	v_cmp_u_f32_e64 s[78:79], v31, v31                         // 00000000A5E0: D048004E 00023F1F
	v_bfe_u32 v248, v31, 16, 1                                 // 00000000A5E8: D1C800F8 0205211F
	v_add3_u32 v248, v31, v248, v251                           // 00000000A5F0: D1FF00F8 07EFF11F
	v_cndmask_b32_e64 v29, v248, v250, s[78:79]                // 00000000A5F8: D100001D 013BF5F8
	v_and_or_b32 v53, v29, v249, v28                           // 00000000A600: D2010035 0473F31D
	v_accvgpr_read_b32 v30, a172                               // 00000000A608: D3D8401E 180001AC
	v_accvgpr_read_b32 v31, a173                               // 00000000A610: D3D8401F 180001AD
	v_mul_f32_e32 v30, s48, v30                                // 00000000A618: 0A3C3C30
	v_mul_f32_e32 v31, s48, v31                                // 00000000A61C: 0A3E3E30
	v_cmp_u_f32_e64 s[78:79], v30, v30                         // 00000000A620: D048004E 00023D1E
	v_bfe_u32 v248, v30, 16, 1                                 // 00000000A628: D1C800F8 0205211E
	v_add3_u32 v248, v30, v248, v251                           // 00000000A630: D1FF00F8 07EFF11E
	v_cndmask_b32_e64 v28, v248, v250, s[78:79]                // 00000000A638: D100001C 013BF5F8
	v_lshrrev_b32_e32 v28, 16, v28                             // 00000000A640: 20383890
	v_cmp_u_f32_e64 s[78:79], v31, v31                         // 00000000A644: D048004E 00023F1F
	v_bfe_u32 v248, v31, 16, 1                                 // 00000000A64C: D1C800F8 0205211F
	v_add3_u32 v248, v31, v248, v251                           // 00000000A654: D1FF00F8 07EFF11F
	v_cndmask_b32_e64 v29, v248, v250, s[78:79]                // 00000000A65C: D100001D 013BF5F8
	v_and_or_b32 v54, v29, v249, v28                           // 00000000A664: D2010036 0473F31D
	v_accvgpr_read_b32 v30, a174                               // 00000000A66C: D3D8401E 180001AE
	v_accvgpr_read_b32 v31, a175                               // 00000000A674: D3D8401F 180001AF
	v_mul_f32_e32 v30, s48, v30                                // 00000000A67C: 0A3C3C30
	v_mul_f32_e32 v31, s48, v31                                // 00000000A680: 0A3E3E30
	v_cmp_u_f32_e64 s[78:79], v30, v30                         // 00000000A684: D048004E 00023D1E
	v_bfe_u32 v248, v30, 16, 1                                 // 00000000A68C: D1C800F8 0205211E
	v_add3_u32 v248, v30, v248, v251                           // 00000000A694: D1FF00F8 07EFF11E
	v_cndmask_b32_e64 v28, v248, v250, s[78:79]                // 00000000A69C: D100001C 013BF5F8
	v_lshrrev_b32_e32 v28, 16, v28                             // 00000000A6A4: 20383890
	v_cmp_u_f32_e64 s[78:79], v31, v31                         // 00000000A6A8: D048004E 00023F1F
	v_bfe_u32 v248, v31, 16, 1                                 // 00000000A6B0: D1C800F8 0205211F
	v_add3_u32 v248, v31, v248, v251                           // 00000000A6B8: D1FF00F8 07EFF11F
	v_cndmask_b32_e64 v29, v248, v250, s[78:79]                // 00000000A6C0: D100001D 013BF5F8
	v_and_or_b32 v55, v29, v249, v28                           // 00000000A6C8: D2010037 0473F31D
	v_accvgpr_read_b32 v30, a176                               // 00000000A6D0: D3D8401E 180001B0
	v_accvgpr_read_b32 v31, a177                               // 00000000A6D8: D3D8401F 180001B1
	v_mul_f32_e32 v30, s48, v30                                // 00000000A6E0: 0A3C3C30
	v_mul_f32_e32 v31, s48, v31                                // 00000000A6E4: 0A3E3E30
	v_cmp_u_f32_e64 s[78:79], v30, v30                         // 00000000A6E8: D048004E 00023D1E
	v_bfe_u32 v248, v30, 16, 1                                 // 00000000A6F0: D1C800F8 0205211E
	v_add3_u32 v248, v30, v248, v251                           // 00000000A6F8: D1FF00F8 07EFF11E
	v_cndmask_b32_e64 v28, v248, v250, s[78:79]                // 00000000A700: D100001C 013BF5F8
	v_lshrrev_b32_e32 v28, 16, v28                             // 00000000A708: 20383890
	v_cmp_u_f32_e64 s[78:79], v31, v31                         // 00000000A70C: D048004E 00023F1F
	v_bfe_u32 v248, v31, 16, 1                                 // 00000000A714: D1C800F8 0205211F
	v_add3_u32 v248, v31, v248, v251                           // 00000000A71C: D1FF00F8 07EFF11F
	v_cndmask_b32_e64 v29, v248, v250, s[78:79]                // 00000000A724: D100001D 013BF5F8
	v_and_or_b32 v56, v29, v249, v28                           // 00000000A72C: D2010038 0473F31D
	v_accvgpr_read_b32 v30, a178                               // 00000000A734: D3D8401E 180001B2
	v_accvgpr_read_b32 v31, a179                               // 00000000A73C: D3D8401F 180001B3
	v_mul_f32_e32 v30, s48, v30                                // 00000000A744: 0A3C3C30
	v_mul_f32_e32 v31, s48, v31                                // 00000000A748: 0A3E3E30
	v_cmp_u_f32_e64 s[78:79], v30, v30                         // 00000000A74C: D048004E 00023D1E
	v_bfe_u32 v248, v30, 16, 1                                 // 00000000A754: D1C800F8 0205211E
	v_add3_u32 v248, v30, v248, v251                           // 00000000A75C: D1FF00F8 07EFF11E
	v_cndmask_b32_e64 v28, v248, v250, s[78:79]                // 00000000A764: D100001C 013BF5F8
	v_lshrrev_b32_e32 v28, 16, v28                             // 00000000A76C: 20383890
	v_cmp_u_f32_e64 s[78:79], v31, v31                         // 00000000A770: D048004E 00023F1F
	v_bfe_u32 v248, v31, 16, 1                                 // 00000000A778: D1C800F8 0205211F
	v_add3_u32 v248, v31, v248, v251                           // 00000000A780: D1FF00F8 07EFF11F
	v_cndmask_b32_e64 v29, v248, v250, s[78:79]                // 00000000A788: D100001D 013BF5F8
	v_and_or_b32 v57, v29, v249, v28                           // 00000000A790: D2010039 0473F31D
	v_accvgpr_read_b32 v30, a180                               // 00000000A798: D3D8401E 180001B4
	v_accvgpr_read_b32 v31, a181                               // 00000000A7A0: D3D8401F 180001B5
	v_mul_f32_e32 v30, s48, v30                                // 00000000A7A8: 0A3C3C30
	v_mul_f32_e32 v31, s48, v31                                // 00000000A7AC: 0A3E3E30
	v_cmp_u_f32_e64 s[78:79], v30, v30                         // 00000000A7B0: D048004E 00023D1E
	v_bfe_u32 v248, v30, 16, 1                                 // 00000000A7B8: D1C800F8 0205211E
	v_add3_u32 v248, v30, v248, v251                           // 00000000A7C0: D1FF00F8 07EFF11E
	v_cndmask_b32_e64 v28, v248, v250, s[78:79]                // 00000000A7C8: D100001C 013BF5F8
	v_lshrrev_b32_e32 v28, 16, v28                             // 00000000A7D0: 20383890
	v_cmp_u_f32_e64 s[78:79], v31, v31                         // 00000000A7D4: D048004E 00023F1F
	v_bfe_u32 v248, v31, 16, 1                                 // 00000000A7DC: D1C800F8 0205211F
	v_add3_u32 v248, v31, v248, v251                           // 00000000A7E4: D1FF00F8 07EFF11F
	v_cndmask_b32_e64 v29, v248, v250, s[78:79]                // 00000000A7EC: D100001D 013BF5F8
	v_and_or_b32 v58, v29, v249, v28                           // 00000000A7F4: D201003A 0473F31D
	v_accvgpr_read_b32 v30, a182                               // 00000000A7FC: D3D8401E 180001B6
	v_accvgpr_read_b32 v31, a183                               // 00000000A804: D3D8401F 180001B7
	v_mul_f32_e32 v30, s48, v30                                // 00000000A80C: 0A3C3C30
	v_mul_f32_e32 v31, s48, v31                                // 00000000A810: 0A3E3E30
	v_cmp_u_f32_e64 s[78:79], v30, v30                         // 00000000A814: D048004E 00023D1E
	v_bfe_u32 v248, v30, 16, 1                                 // 00000000A81C: D1C800F8 0205211E
	v_add3_u32 v248, v30, v248, v251                           // 00000000A824: D1FF00F8 07EFF11E
	v_cndmask_b32_e64 v28, v248, v250, s[78:79]                // 00000000A82C: D100001C 013BF5F8
	v_lshrrev_b32_e32 v28, 16, v28                             // 00000000A834: 20383890
	v_cmp_u_f32_e64 s[78:79], v31, v31                         // 00000000A838: D048004E 00023F1F
	v_bfe_u32 v248, v31, 16, 1                                 // 00000000A840: D1C800F8 0205211F
	v_add3_u32 v248, v31, v248, v251                           // 00000000A848: D1FF00F8 07EFF11F
	v_cndmask_b32_e64 v29, v248, v250, s[78:79]                // 00000000A850: D100001D 013BF5F8
	v_and_or_b32 v59, v29, v249, v28                           // 00000000A858: D201003B 0473F31D
	v_accvgpr_read_b32 v30, a184                               // 00000000A860: D3D8401E 180001B8
	v_accvgpr_read_b32 v31, a185                               // 00000000A868: D3D8401F 180001B9
	v_mul_f32_e32 v30, s48, v30                                // 00000000A870: 0A3C3C30
	v_mul_f32_e32 v31, s48, v31                                // 00000000A874: 0A3E3E30
	v_cmp_u_f32_e64 s[78:79], v30, v30                         // 00000000A878: D048004E 00023D1E
	v_bfe_u32 v248, v30, 16, 1                                 // 00000000A880: D1C800F8 0205211E
	v_add3_u32 v248, v30, v248, v251                           // 00000000A888: D1FF00F8 07EFF11E
	v_cndmask_b32_e64 v28, v248, v250, s[78:79]                // 00000000A890: D100001C 013BF5F8
	v_lshrrev_b32_e32 v28, 16, v28                             // 00000000A898: 20383890
	v_cmp_u_f32_e64 s[78:79], v31, v31                         // 00000000A89C: D048004E 00023F1F
	v_bfe_u32 v248, v31, 16, 1                                 // 00000000A8A4: D1C800F8 0205211F
	v_add3_u32 v248, v31, v248, v251                           // 00000000A8AC: D1FF00F8 07EFF11F
	v_cndmask_b32_e64 v29, v248, v250, s[78:79]                // 00000000A8B4: D100001D 013BF5F8
	v_and_or_b32 v60, v29, v249, v28                           // 00000000A8BC: D201003C 0473F31D
	v_accvgpr_read_b32 v30, a186                               // 00000000A8C4: D3D8401E 180001BA
	v_accvgpr_read_b32 v31, a187                               // 00000000A8CC: D3D8401F 180001BB
	v_mul_f32_e32 v30, s48, v30                                // 00000000A8D4: 0A3C3C30
	v_mul_f32_e32 v31, s48, v31                                // 00000000A8D8: 0A3E3E30
	v_cmp_u_f32_e64 s[78:79], v30, v30                         // 00000000A8DC: D048004E 00023D1E
	v_bfe_u32 v248, v30, 16, 1                                 // 00000000A8E4: D1C800F8 0205211E
	v_add3_u32 v248, v30, v248, v251                           // 00000000A8EC: D1FF00F8 07EFF11E
	v_cndmask_b32_e64 v28, v248, v250, s[78:79]                // 00000000A8F4: D100001C 013BF5F8
	v_lshrrev_b32_e32 v28, 16, v28                             // 00000000A8FC: 20383890
	v_cmp_u_f32_e64 s[78:79], v31, v31                         // 00000000A900: D048004E 00023F1F
	v_bfe_u32 v248, v31, 16, 1                                 // 00000000A908: D1C800F8 0205211F
	v_add3_u32 v248, v31, v248, v251                           // 00000000A910: D1FF00F8 07EFF11F
	v_cndmask_b32_e64 v29, v248, v250, s[78:79]                // 00000000A918: D100001D 013BF5F8
	v_and_or_b32 v61, v29, v249, v28                           // 00000000A920: D201003D 0473F31D
	v_accvgpr_read_b32 v30, a188                               // 00000000A928: D3D8401E 180001BC
	v_accvgpr_read_b32 v31, a189                               // 00000000A930: D3D8401F 180001BD
	v_mul_f32_e32 v30, s48, v30                                // 00000000A938: 0A3C3C30
	v_mul_f32_e32 v31, s48, v31                                // 00000000A93C: 0A3E3E30
	v_cmp_u_f32_e64 s[78:79], v30, v30                         // 00000000A940: D048004E 00023D1E
	v_bfe_u32 v248, v30, 16, 1                                 // 00000000A948: D1C800F8 0205211E
	v_add3_u32 v248, v30, v248, v251                           // 00000000A950: D1FF00F8 07EFF11E
	v_cndmask_b32_e64 v28, v248, v250, s[78:79]                // 00000000A958: D100001C 013BF5F8
	v_lshrrev_b32_e32 v28, 16, v28                             // 00000000A960: 20383890
	v_cmp_u_f32_e64 s[78:79], v31, v31                         // 00000000A964: D048004E 00023F1F
	v_bfe_u32 v248, v31, 16, 1                                 // 00000000A96C: D1C800F8 0205211F
	v_add3_u32 v248, v31, v248, v251                           // 00000000A974: D1FF00F8 07EFF11F
	v_cndmask_b32_e64 v29, v248, v250, s[78:79]                // 00000000A97C: D100001D 013BF5F8
	v_and_or_b32 v62, v29, v249, v28                           // 00000000A984: D201003E 0473F31D
	v_accvgpr_read_b32 v30, a190                               // 00000000A98C: D3D8401E 180001BE
	v_accvgpr_read_b32 v31, a191                               // 00000000A994: D3D8401F 180001BF
	v_mul_f32_e32 v30, s48, v30                                // 00000000A99C: 0A3C3C30
	v_mul_f32_e32 v31, s48, v31                                // 00000000A9A0: 0A3E3E30
	v_cmp_u_f32_e64 s[78:79], v30, v30                         // 00000000A9A4: D048004E 00023D1E
	v_bfe_u32 v248, v30, 16, 1                                 // 00000000A9AC: D1C800F8 0205211E
	v_add3_u32 v248, v30, v248, v251                           // 00000000A9B4: D1FF00F8 07EFF11E
	v_cndmask_b32_e64 v28, v248, v250, s[78:79]                // 00000000A9BC: D100001C 013BF5F8
	v_lshrrev_b32_e32 v28, 16, v28                             // 00000000A9C4: 20383890
	v_cmp_u_f32_e64 s[78:79], v31, v31                         // 00000000A9C8: D048004E 00023F1F
	v_bfe_u32 v248, v31, 16, 1                                 // 00000000A9D0: D1C800F8 0205211F
	v_add3_u32 v248, v31, v248, v251                           // 00000000A9D8: D1FF00F8 07EFF11F
	v_cndmask_b32_e64 v29, v248, v250, s[78:79]                // 00000000A9E0: D100001D 013BF5F8
	v_and_or_b32 v63, v29, v249, v28                           // 00000000A9E8: D201003F 0473F31D
	ds_write_b64 v27, v[48:49]                                 // 00000000A9F0: D89A0000 0000301B
	ds_write_b64 v27, v[50:51] offset:528                      // 00000000A9F8: D89A0210 0000321B
	ds_write_b64 v27, v[52:53] offset:1056                     // 00000000AA00: D89A0420 0000341B
	ds_write_b64 v27, v[54:55] offset:1584                     // 00000000AA08: D89A0630 0000361B
	ds_write_b64 v27, v[56:57] offset:2112                     // 00000000AA10: D89A0840 0000381B
	ds_write_b64 v27, v[58:59] offset:2640                     // 00000000AA18: D89A0A50 00003A1B
	ds_write_b64 v27, v[60:61] offset:3168                     // 00000000AA20: D89A0C60 00003C1B
	ds_write_b64 v27, v[62:63] offset:3696                     // 00000000AA28: D89A0E70 00003E1B
	s_waitcnt lgkmcnt(0)                                       // 00000000AA30: BF8CC07F
	s_barrier                                                  // 00000000AA34: BF8A0000
	ds_read_b64 v[48:49], v26                                  // 00000000AA38: D8EC0000 3000001A
	ds_read_b64 v[50:51], v26 offset:128                       // 00000000AA40: D8EC0080 3200001A
	ds_read_b64 v[52:53], v26 offset:32                        // 00000000AA48: D8EC0020 3400001A
	ds_read_b64 v[54:55], v26 offset:160                       // 00000000AA50: D8EC00A0 3600001A
	ds_read_b64 v[56:57], v26 offset:64                        // 00000000AA58: D8EC0040 3800001A
	ds_read_b64 v[58:59], v26 offset:192                       // 00000000AA60: D8EC00C0 3A00001A
	ds_read_b64 v[60:61], v26 offset:96                        // 00000000AA68: D8EC0060 3C00001A
	ds_read_b64 v[62:63], v26 offset:224                       // 00000000AA70: D8EC00E0 3E00001A
	s_waitcnt lgkmcnt(0)                                       // 00000000AA78: BF8CC07F
	s_mov_b64 exec, s[96:97]                                   // 00000000AA7C: BEFE0160
	buffer_store_dwordx4 v[48:51], v5, s[36:39], 0 idxen       // 00000000AA80: E07C2000 80093005
	s_mov_b64 exec, s[92:93]                                   // 00000000AA88: BEFE015C
	v_add_u32_e32 v5, s46, v5                                  // 00000000AA8C: 680A0A2E
	s_mov_b64 exec, s[96:97]                                   // 00000000AA90: BEFE0160
	buffer_store_dwordx4 v[52:55], v5, s[36:39], 0 idxen       // 00000000AA94: E07C2000 80093405
	s_mov_b64 exec, s[92:93]                                   // 00000000AA9C: BEFE015C
	v_add_u32_e32 v5, s46, v5                                  // 00000000AAA0: 680A0A2E
	s_mov_b64 exec, s[96:97]                                   // 00000000AAA4: BEFE0160
	buffer_store_dwordx4 v[56:59], v5, s[36:39], 0 idxen       // 00000000AAA8: E07C2000 80093805
	s_mov_b64 exec, s[92:93]                                   // 00000000AAB0: BEFE015C
	v_add_u32_e32 v5, s46, v5                                  // 00000000AAB4: 680A0A2E
	s_mov_b64 exec, s[96:97]                                   // 00000000AAB8: BEFE0160
	buffer_store_dwordx4 v[60:63], v5, s[36:39], 0 idxen       // 00000000AABC: E07C2000 80093C05
	s_mov_b64 exec, s[92:93]                                   // 00000000AAC4: BEFE015C
	v_add_u32_e32 v5, s46, v5                                  // 00000000AAC8: 680A0A2E
	s_mul_i32 s60, 12, s46                                     // 00000000AACC: 923C2E8C
	v_add_u32_e32 v5, s60, v5                                  // 00000000AAD0: 680A0A3C
	s_barrier                                                  // 00000000AAD4: BF8A0000
	s_cmp_ge_i32 1, s72                                        // 00000000AAD8: BF034881
	s_cbranch_scc1 label_1ED0                                  // 00000000AADC: BF850398
	v_accvgpr_read_b32 v30, a192                               // 00000000AAE0: D3D8401E 180001C0
	v_accvgpr_read_b32 v31, a193                               // 00000000AAE8: D3D8401F 180001C1
	v_mul_f32_e32 v30, s48, v30                                // 00000000AAF0: 0A3C3C30
	v_mul_f32_e32 v31, s48, v31                                // 00000000AAF4: 0A3E3E30
	v_cmp_u_f32_e64 s[78:79], v30, v30                         // 00000000AAF8: D048004E 00023D1E
	v_bfe_u32 v248, v30, 16, 1                                 // 00000000AB00: D1C800F8 0205211E
	v_add3_u32 v248, v30, v248, v251                           // 00000000AB08: D1FF00F8 07EFF11E
	v_cndmask_b32_e64 v28, v248, v250, s[78:79]                // 00000000AB10: D100001C 013BF5F8
	v_lshrrev_b32_e32 v28, 16, v28                             // 00000000AB18: 20383890
	v_cmp_u_f32_e64 s[78:79], v31, v31                         // 00000000AB1C: D048004E 00023F1F
	v_bfe_u32 v248, v31, 16, 1                                 // 00000000AB24: D1C800F8 0205211F
	v_add3_u32 v248, v31, v248, v251                           // 00000000AB2C: D1FF00F8 07EFF11F
	v_cndmask_b32_e64 v29, v248, v250, s[78:79]                // 00000000AB34: D100001D 013BF5F8
	v_and_or_b32 v64, v29, v249, v28                           // 00000000AB3C: D2010040 0473F31D
	v_accvgpr_read_b32 v30, a194                               // 00000000AB44: D3D8401E 180001C2
	v_accvgpr_read_b32 v31, a195                               // 00000000AB4C: D3D8401F 180001C3
	v_mul_f32_e32 v30, s48, v30                                // 00000000AB54: 0A3C3C30
	v_mul_f32_e32 v31, s48, v31                                // 00000000AB58: 0A3E3E30
	v_cmp_u_f32_e64 s[78:79], v30, v30                         // 00000000AB5C: D048004E 00023D1E
	v_bfe_u32 v248, v30, 16, 1                                 // 00000000AB64: D1C800F8 0205211E
	v_add3_u32 v248, v30, v248, v251                           // 00000000AB6C: D1FF00F8 07EFF11E
	v_cndmask_b32_e64 v28, v248, v250, s[78:79]                // 00000000AB74: D100001C 013BF5F8
	v_lshrrev_b32_e32 v28, 16, v28                             // 00000000AB7C: 20383890
	v_cmp_u_f32_e64 s[78:79], v31, v31                         // 00000000AB80: D048004E 00023F1F
	v_bfe_u32 v248, v31, 16, 1                                 // 00000000AB88: D1C800F8 0205211F
	v_add3_u32 v248, v31, v248, v251                           // 00000000AB90: D1FF00F8 07EFF11F
	v_cndmask_b32_e64 v29, v248, v250, s[78:79]                // 00000000AB98: D100001D 013BF5F8
	v_and_or_b32 v65, v29, v249, v28                           // 00000000ABA0: D2010041 0473F31D
	v_accvgpr_read_b32 v30, a196                               // 00000000ABA8: D3D8401E 180001C4
	v_accvgpr_read_b32 v31, a197                               // 00000000ABB0: D3D8401F 180001C5
	v_mul_f32_e32 v30, s48, v30                                // 00000000ABB8: 0A3C3C30
	v_mul_f32_e32 v31, s48, v31                                // 00000000ABBC: 0A3E3E30
	v_cmp_u_f32_e64 s[78:79], v30, v30                         // 00000000ABC0: D048004E 00023D1E
	v_bfe_u32 v248, v30, 16, 1                                 // 00000000ABC8: D1C800F8 0205211E
	v_add3_u32 v248, v30, v248, v251                           // 00000000ABD0: D1FF00F8 07EFF11E
	v_cndmask_b32_e64 v28, v248, v250, s[78:79]                // 00000000ABD8: D100001C 013BF5F8
	v_lshrrev_b32_e32 v28, 16, v28                             // 00000000ABE0: 20383890
	v_cmp_u_f32_e64 s[78:79], v31, v31                         // 00000000ABE4: D048004E 00023F1F
	v_bfe_u32 v248, v31, 16, 1                                 // 00000000ABEC: D1C800F8 0205211F
	v_add3_u32 v248, v31, v248, v251                           // 00000000ABF4: D1FF00F8 07EFF11F
	v_cndmask_b32_e64 v29, v248, v250, s[78:79]                // 00000000ABFC: D100001D 013BF5F8
	v_and_or_b32 v66, v29, v249, v28                           // 00000000AC04: D2010042 0473F31D
	v_accvgpr_read_b32 v30, a198                               // 00000000AC0C: D3D8401E 180001C6
	v_accvgpr_read_b32 v31, a199                               // 00000000AC14: D3D8401F 180001C7
	v_mul_f32_e32 v30, s48, v30                                // 00000000AC1C: 0A3C3C30
	v_mul_f32_e32 v31, s48, v31                                // 00000000AC20: 0A3E3E30
	v_cmp_u_f32_e64 s[78:79], v30, v30                         // 00000000AC24: D048004E 00023D1E
	v_bfe_u32 v248, v30, 16, 1                                 // 00000000AC2C: D1C800F8 0205211E
	v_add3_u32 v248, v30, v248, v251                           // 00000000AC34: D1FF00F8 07EFF11E
	v_cndmask_b32_e64 v28, v248, v250, s[78:79]                // 00000000AC3C: D100001C 013BF5F8
	v_lshrrev_b32_e32 v28, 16, v28                             // 00000000AC44: 20383890
	v_cmp_u_f32_e64 s[78:79], v31, v31                         // 00000000AC48: D048004E 00023F1F
	v_bfe_u32 v248, v31, 16, 1                                 // 00000000AC50: D1C800F8 0205211F
	v_add3_u32 v248, v31, v248, v251                           // 00000000AC58: D1FF00F8 07EFF11F
	v_cndmask_b32_e64 v29, v248, v250, s[78:79]                // 00000000AC60: D100001D 013BF5F8
	v_and_or_b32 v67, v29, v249, v28                           // 00000000AC68: D2010043 0473F31D
	v_accvgpr_read_b32 v30, a200                               // 00000000AC70: D3D8401E 180001C8
	v_accvgpr_read_b32 v31, a201                               // 00000000AC78: D3D8401F 180001C9
	v_mul_f32_e32 v30, s48, v30                                // 00000000AC80: 0A3C3C30
	v_mul_f32_e32 v31, s48, v31                                // 00000000AC84: 0A3E3E30
	v_cmp_u_f32_e64 s[78:79], v30, v30                         // 00000000AC88: D048004E 00023D1E
	v_bfe_u32 v248, v30, 16, 1                                 // 00000000AC90: D1C800F8 0205211E
	v_add3_u32 v248, v30, v248, v251                           // 00000000AC98: D1FF00F8 07EFF11E
	v_cndmask_b32_e64 v28, v248, v250, s[78:79]                // 00000000ACA0: D100001C 013BF5F8
	v_lshrrev_b32_e32 v28, 16, v28                             // 00000000ACA8: 20383890
	v_cmp_u_f32_e64 s[78:79], v31, v31                         // 00000000ACAC: D048004E 00023F1F
	v_bfe_u32 v248, v31, 16, 1                                 // 00000000ACB4: D1C800F8 0205211F
	v_add3_u32 v248, v31, v248, v251                           // 00000000ACBC: D1FF00F8 07EFF11F
	v_cndmask_b32_e64 v29, v248, v250, s[78:79]                // 00000000ACC4: D100001D 013BF5F8
	v_and_or_b32 v68, v29, v249, v28                           // 00000000ACCC: D2010044 0473F31D
	v_accvgpr_read_b32 v30, a202                               // 00000000ACD4: D3D8401E 180001CA
	v_accvgpr_read_b32 v31, a203                               // 00000000ACDC: D3D8401F 180001CB
	v_mul_f32_e32 v30, s48, v30                                // 00000000ACE4: 0A3C3C30
	v_mul_f32_e32 v31, s48, v31                                // 00000000ACE8: 0A3E3E30
	v_cmp_u_f32_e64 s[78:79], v30, v30                         // 00000000ACEC: D048004E 00023D1E
	v_bfe_u32 v248, v30, 16, 1                                 // 00000000ACF4: D1C800F8 0205211E
	v_add3_u32 v248, v30, v248, v251                           // 00000000ACFC: D1FF00F8 07EFF11E
	v_cndmask_b32_e64 v28, v248, v250, s[78:79]                // 00000000AD04: D100001C 013BF5F8
	v_lshrrev_b32_e32 v28, 16, v28                             // 00000000AD0C: 20383890
	v_cmp_u_f32_e64 s[78:79], v31, v31                         // 00000000AD10: D048004E 00023F1F
	v_bfe_u32 v248, v31, 16, 1                                 // 00000000AD18: D1C800F8 0205211F
	v_add3_u32 v248, v31, v248, v251                           // 00000000AD20: D1FF00F8 07EFF11F
	v_cndmask_b32_e64 v29, v248, v250, s[78:79]                // 00000000AD28: D100001D 013BF5F8
	v_and_or_b32 v69, v29, v249, v28                           // 00000000AD30: D2010045 0473F31D
	v_accvgpr_read_b32 v30, a204                               // 00000000AD38: D3D8401E 180001CC
	v_accvgpr_read_b32 v31, a205                               // 00000000AD40: D3D8401F 180001CD
	v_mul_f32_e32 v30, s48, v30                                // 00000000AD48: 0A3C3C30
	v_mul_f32_e32 v31, s48, v31                                // 00000000AD4C: 0A3E3E30
	v_cmp_u_f32_e64 s[78:79], v30, v30                         // 00000000AD50: D048004E 00023D1E
	v_bfe_u32 v248, v30, 16, 1                                 // 00000000AD58: D1C800F8 0205211E
	v_add3_u32 v248, v30, v248, v251                           // 00000000AD60: D1FF00F8 07EFF11E
	v_cndmask_b32_e64 v28, v248, v250, s[78:79]                // 00000000AD68: D100001C 013BF5F8
	v_lshrrev_b32_e32 v28, 16, v28                             // 00000000AD70: 20383890
	v_cmp_u_f32_e64 s[78:79], v31, v31                         // 00000000AD74: D048004E 00023F1F
	v_bfe_u32 v248, v31, 16, 1                                 // 00000000AD7C: D1C800F8 0205211F
	v_add3_u32 v248, v31, v248, v251                           // 00000000AD84: D1FF00F8 07EFF11F
	v_cndmask_b32_e64 v29, v248, v250, s[78:79]                // 00000000AD8C: D100001D 013BF5F8
	v_and_or_b32 v70, v29, v249, v28                           // 00000000AD94: D2010046 0473F31D
	v_accvgpr_read_b32 v30, a206                               // 00000000AD9C: D3D8401E 180001CE
	v_accvgpr_read_b32 v31, a207                               // 00000000ADA4: D3D8401F 180001CF
	v_mul_f32_e32 v30, s48, v30                                // 00000000ADAC: 0A3C3C30
	v_mul_f32_e32 v31, s48, v31                                // 00000000ADB0: 0A3E3E30
	v_cmp_u_f32_e64 s[78:79], v30, v30                         // 00000000ADB4: D048004E 00023D1E
	v_bfe_u32 v248, v30, 16, 1                                 // 00000000ADBC: D1C800F8 0205211E
	v_add3_u32 v248, v30, v248, v251                           // 00000000ADC4: D1FF00F8 07EFF11E
	v_cndmask_b32_e64 v28, v248, v250, s[78:79]                // 00000000ADCC: D100001C 013BF5F8
	v_lshrrev_b32_e32 v28, 16, v28                             // 00000000ADD4: 20383890
	v_cmp_u_f32_e64 s[78:79], v31, v31                         // 00000000ADD8: D048004E 00023F1F
	v_bfe_u32 v248, v31, 16, 1                                 // 00000000ADE0: D1C800F8 0205211F
	v_add3_u32 v248, v31, v248, v251                           // 00000000ADE8: D1FF00F8 07EFF11F
	v_cndmask_b32_e64 v29, v248, v250, s[78:79]                // 00000000ADF0: D100001D 013BF5F8
	v_and_or_b32 v71, v29, v249, v28                           // 00000000ADF8: D2010047 0473F31D
	v_accvgpr_read_b32 v30, a208                               // 00000000AE00: D3D8401E 180001D0
	v_accvgpr_read_b32 v31, a209                               // 00000000AE08: D3D8401F 180001D1
	v_mul_f32_e32 v30, s48, v30                                // 00000000AE10: 0A3C3C30
	v_mul_f32_e32 v31, s48, v31                                // 00000000AE14: 0A3E3E30
	v_cmp_u_f32_e64 s[78:79], v30, v30                         // 00000000AE18: D048004E 00023D1E
	v_bfe_u32 v248, v30, 16, 1                                 // 00000000AE20: D1C800F8 0205211E
	v_add3_u32 v248, v30, v248, v251                           // 00000000AE28: D1FF00F8 07EFF11E
	v_cndmask_b32_e64 v28, v248, v250, s[78:79]                // 00000000AE30: D100001C 013BF5F8
	v_lshrrev_b32_e32 v28, 16, v28                             // 00000000AE38: 20383890
	v_cmp_u_f32_e64 s[78:79], v31, v31                         // 00000000AE3C: D048004E 00023F1F
	v_bfe_u32 v248, v31, 16, 1                                 // 00000000AE44: D1C800F8 0205211F
	v_add3_u32 v248, v31, v248, v251                           // 00000000AE4C: D1FF00F8 07EFF11F
	v_cndmask_b32_e64 v29, v248, v250, s[78:79]                // 00000000AE54: D100001D 013BF5F8
	v_and_or_b32 v72, v29, v249, v28                           // 00000000AE5C: D2010048 0473F31D
	v_accvgpr_read_b32 v30, a210                               // 00000000AE64: D3D8401E 180001D2
	v_accvgpr_read_b32 v31, a211                               // 00000000AE6C: D3D8401F 180001D3
	v_mul_f32_e32 v30, s48, v30                                // 00000000AE74: 0A3C3C30
	v_mul_f32_e32 v31, s48, v31                                // 00000000AE78: 0A3E3E30
	v_cmp_u_f32_e64 s[78:79], v30, v30                         // 00000000AE7C: D048004E 00023D1E
	v_bfe_u32 v248, v30, 16, 1                                 // 00000000AE84: D1C800F8 0205211E
	v_add3_u32 v248, v30, v248, v251                           // 00000000AE8C: D1FF00F8 07EFF11E
	v_cndmask_b32_e64 v28, v248, v250, s[78:79]                // 00000000AE94: D100001C 013BF5F8
	v_lshrrev_b32_e32 v28, 16, v28                             // 00000000AE9C: 20383890
	v_cmp_u_f32_e64 s[78:79], v31, v31                         // 00000000AEA0: D048004E 00023F1F
	v_bfe_u32 v248, v31, 16, 1                                 // 00000000AEA8: D1C800F8 0205211F
	v_add3_u32 v248, v31, v248, v251                           // 00000000AEB0: D1FF00F8 07EFF11F
	v_cndmask_b32_e64 v29, v248, v250, s[78:79]                // 00000000AEB8: D100001D 013BF5F8
	v_and_or_b32 v73, v29, v249, v28                           // 00000000AEC0: D2010049 0473F31D
	v_accvgpr_read_b32 v30, a212                               // 00000000AEC8: D3D8401E 180001D4
	v_accvgpr_read_b32 v31, a213                               // 00000000AED0: D3D8401F 180001D5
	v_mul_f32_e32 v30, s48, v30                                // 00000000AED8: 0A3C3C30
	v_mul_f32_e32 v31, s48, v31                                // 00000000AEDC: 0A3E3E30
	v_cmp_u_f32_e64 s[78:79], v30, v30                         // 00000000AEE0: D048004E 00023D1E
	v_bfe_u32 v248, v30, 16, 1                                 // 00000000AEE8: D1C800F8 0205211E
	v_add3_u32 v248, v30, v248, v251                           // 00000000AEF0: D1FF00F8 07EFF11E
	v_cndmask_b32_e64 v28, v248, v250, s[78:79]                // 00000000AEF8: D100001C 013BF5F8
	v_lshrrev_b32_e32 v28, 16, v28                             // 00000000AF00: 20383890
	v_cmp_u_f32_e64 s[78:79], v31, v31                         // 00000000AF04: D048004E 00023F1F
	v_bfe_u32 v248, v31, 16, 1                                 // 00000000AF0C: D1C800F8 0205211F
	v_add3_u32 v248, v31, v248, v251                           // 00000000AF14: D1FF00F8 07EFF11F
	v_cndmask_b32_e64 v29, v248, v250, s[78:79]                // 00000000AF1C: D100001D 013BF5F8
	v_and_or_b32 v74, v29, v249, v28                           // 00000000AF24: D201004A 0473F31D
	v_accvgpr_read_b32 v30, a214                               // 00000000AF2C: D3D8401E 180001D6
	v_accvgpr_read_b32 v31, a215                               // 00000000AF34: D3D8401F 180001D7
	v_mul_f32_e32 v30, s48, v30                                // 00000000AF3C: 0A3C3C30
	v_mul_f32_e32 v31, s48, v31                                // 00000000AF40: 0A3E3E30
	v_cmp_u_f32_e64 s[78:79], v30, v30                         // 00000000AF44: D048004E 00023D1E
	v_bfe_u32 v248, v30, 16, 1                                 // 00000000AF4C: D1C800F8 0205211E
	v_add3_u32 v248, v30, v248, v251                           // 00000000AF54: D1FF00F8 07EFF11E
	v_cndmask_b32_e64 v28, v248, v250, s[78:79]                // 00000000AF5C: D100001C 013BF5F8
	v_lshrrev_b32_e32 v28, 16, v28                             // 00000000AF64: 20383890
	v_cmp_u_f32_e64 s[78:79], v31, v31                         // 00000000AF68: D048004E 00023F1F
	v_bfe_u32 v248, v31, 16, 1                                 // 00000000AF70: D1C800F8 0205211F
	v_add3_u32 v248, v31, v248, v251                           // 00000000AF78: D1FF00F8 07EFF11F
	v_cndmask_b32_e64 v29, v248, v250, s[78:79]                // 00000000AF80: D100001D 013BF5F8
	v_and_or_b32 v75, v29, v249, v28                           // 00000000AF88: D201004B 0473F31D
	v_accvgpr_read_b32 v30, a216                               // 00000000AF90: D3D8401E 180001D8
	v_accvgpr_read_b32 v31, a217                               // 00000000AF98: D3D8401F 180001D9
	v_mul_f32_e32 v30, s48, v30                                // 00000000AFA0: 0A3C3C30
	v_mul_f32_e32 v31, s48, v31                                // 00000000AFA4: 0A3E3E30
	v_cmp_u_f32_e64 s[78:79], v30, v30                         // 00000000AFA8: D048004E 00023D1E
	v_bfe_u32 v248, v30, 16, 1                                 // 00000000AFB0: D1C800F8 0205211E
	v_add3_u32 v248, v30, v248, v251                           // 00000000AFB8: D1FF00F8 07EFF11E
	v_cndmask_b32_e64 v28, v248, v250, s[78:79]                // 00000000AFC0: D100001C 013BF5F8
	v_lshrrev_b32_e32 v28, 16, v28                             // 00000000AFC8: 20383890
	v_cmp_u_f32_e64 s[78:79], v31, v31                         // 00000000AFCC: D048004E 00023F1F
	v_bfe_u32 v248, v31, 16, 1                                 // 00000000AFD4: D1C800F8 0205211F
	v_add3_u32 v248, v31, v248, v251                           // 00000000AFDC: D1FF00F8 07EFF11F
	v_cndmask_b32_e64 v29, v248, v250, s[78:79]                // 00000000AFE4: D100001D 013BF5F8
	v_and_or_b32 v76, v29, v249, v28                           // 00000000AFEC: D201004C 0473F31D
	v_accvgpr_read_b32 v30, a218                               // 00000000AFF4: D3D8401E 180001DA
	v_accvgpr_read_b32 v31, a219                               // 00000000AFFC: D3D8401F 180001DB
	v_mul_f32_e32 v30, s48, v30                                // 00000000B004: 0A3C3C30
	v_mul_f32_e32 v31, s48, v31                                // 00000000B008: 0A3E3E30
	v_cmp_u_f32_e64 s[78:79], v30, v30                         // 00000000B00C: D048004E 00023D1E
	v_bfe_u32 v248, v30, 16, 1                                 // 00000000B014: D1C800F8 0205211E
	v_add3_u32 v248, v30, v248, v251                           // 00000000B01C: D1FF00F8 07EFF11E
	v_cndmask_b32_e64 v28, v248, v250, s[78:79]                // 00000000B024: D100001C 013BF5F8
	v_lshrrev_b32_e32 v28, 16, v28                             // 00000000B02C: 20383890
	v_cmp_u_f32_e64 s[78:79], v31, v31                         // 00000000B030: D048004E 00023F1F
	v_bfe_u32 v248, v31, 16, 1                                 // 00000000B038: D1C800F8 0205211F
	v_add3_u32 v248, v31, v248, v251                           // 00000000B040: D1FF00F8 07EFF11F
	v_cndmask_b32_e64 v29, v248, v250, s[78:79]                // 00000000B048: D100001D 013BF5F8
	v_and_or_b32 v77, v29, v249, v28                           // 00000000B050: D201004D 0473F31D
	v_accvgpr_read_b32 v30, a220                               // 00000000B058: D3D8401E 180001DC
	v_accvgpr_read_b32 v31, a221                               // 00000000B060: D3D8401F 180001DD
	v_mul_f32_e32 v30, s48, v30                                // 00000000B068: 0A3C3C30
	v_mul_f32_e32 v31, s48, v31                                // 00000000B06C: 0A3E3E30
	v_cmp_u_f32_e64 s[78:79], v30, v30                         // 00000000B070: D048004E 00023D1E
	v_bfe_u32 v248, v30, 16, 1                                 // 00000000B078: D1C800F8 0205211E
	v_add3_u32 v248, v30, v248, v251                           // 00000000B080: D1FF00F8 07EFF11E
	v_cndmask_b32_e64 v28, v248, v250, s[78:79]                // 00000000B088: D100001C 013BF5F8
	v_lshrrev_b32_e32 v28, 16, v28                             // 00000000B090: 20383890
	v_cmp_u_f32_e64 s[78:79], v31, v31                         // 00000000B094: D048004E 00023F1F
	v_bfe_u32 v248, v31, 16, 1                                 // 00000000B09C: D1C800F8 0205211F
	v_add3_u32 v248, v31, v248, v251                           // 00000000B0A4: D1FF00F8 07EFF11F
	v_cndmask_b32_e64 v29, v248, v250, s[78:79]                // 00000000B0AC: D100001D 013BF5F8
	v_and_or_b32 v78, v29, v249, v28                           // 00000000B0B4: D201004E 0473F31D
	v_accvgpr_read_b32 v30, a222                               // 00000000B0BC: D3D8401E 180001DE
	v_accvgpr_read_b32 v31, a223                               // 00000000B0C4: D3D8401F 180001DF
	v_mul_f32_e32 v30, s48, v30                                // 00000000B0CC: 0A3C3C30
	v_mul_f32_e32 v31, s48, v31                                // 00000000B0D0: 0A3E3E30
	v_cmp_u_f32_e64 s[78:79], v30, v30                         // 00000000B0D4: D048004E 00023D1E
	v_bfe_u32 v248, v30, 16, 1                                 // 00000000B0DC: D1C800F8 0205211E
	v_add3_u32 v248, v30, v248, v251                           // 00000000B0E4: D1FF00F8 07EFF11E
	v_cndmask_b32_e64 v28, v248, v250, s[78:79]                // 00000000B0EC: D100001C 013BF5F8
	v_lshrrev_b32_e32 v28, 16, v28                             // 00000000B0F4: 20383890
	v_cmp_u_f32_e64 s[78:79], v31, v31                         // 00000000B0F8: D048004E 00023F1F
	v_bfe_u32 v248, v31, 16, 1                                 // 00000000B100: D1C800F8 0205211F
	v_add3_u32 v248, v31, v248, v251                           // 00000000B108: D1FF00F8 07EFF11F
	v_cndmask_b32_e64 v29, v248, v250, s[78:79]                // 00000000B110: D100001D 013BF5F8
	v_and_or_b32 v79, v29, v249, v28                           // 00000000B118: D201004F 0473F31D
	ds_write_b64 v27, v[64:65] offset:16896                    // 00000000B120: D89A4200 0000401B
	ds_write_b64 v27, v[66:67] offset:17424                    // 00000000B128: D89A4410 0000421B
	ds_write_b64 v27, v[68:69] offset:17952                    // 00000000B130: D89A4620 0000441B
	ds_write_b64 v27, v[70:71] offset:18480                    // 00000000B138: D89A4830 0000461B
	ds_write_b64 v27, v[72:73] offset:19008                    // 00000000B140: D89A4A40 0000481B
	ds_write_b64 v27, v[74:75] offset:19536                    // 00000000B148: D89A4C50 00004A1B
	ds_write_b64 v27, v[76:77] offset:20064                    // 00000000B150: D89A4E60 00004C1B
	ds_write_b64 v27, v[78:79] offset:20592                    // 00000000B158: D89A5070 00004E1B
	s_waitcnt lgkmcnt(0)                                       // 00000000B160: BF8CC07F
	s_barrier                                                  // 00000000B164: BF8A0000
	ds_read_b64 v[64:65], v26 offset:16896                     // 00000000B168: D8EC4200 4000001A
	ds_read_b64 v[66:67], v26 offset:17024                     // 00000000B170: D8EC4280 4200001A
	ds_read_b64 v[68:69], v26 offset:16928                     // 00000000B178: D8EC4220 4400001A
	ds_read_b64 v[70:71], v26 offset:17056                     // 00000000B180: D8EC42A0 4600001A
	ds_read_b64 v[72:73], v26 offset:16960                     // 00000000B188: D8EC4240 4800001A
	ds_read_b64 v[74:75], v26 offset:17088                     // 00000000B190: D8EC42C0 4A00001A
	ds_read_b64 v[76:77], v26 offset:16992                     // 00000000B198: D8EC4260 4C00001A
	ds_read_b64 v[78:79], v26 offset:17120                     // 00000000B1A0: D8EC42E0 4E00001A
	s_waitcnt lgkmcnt(0)                                       // 00000000B1A8: BF8CC07F
	s_mov_b64 exec, s[96:97]                                   // 00000000B1AC: BEFE0160
	buffer_store_dwordx4 v[64:67], v5, s[36:39], 0 idxen       // 00000000B1B0: E07C2000 80094005
	s_mov_b64 exec, s[92:93]                                   // 00000000B1B8: BEFE015C
	v_add_u32_e32 v5, s46, v5                                  // 00000000B1BC: 680A0A2E
	s_mov_b64 exec, s[96:97]                                   // 00000000B1C0: BEFE0160
	buffer_store_dwordx4 v[68:71], v5, s[36:39], 0 idxen       // 00000000B1C4: E07C2000 80094405
	s_mov_b64 exec, s[92:93]                                   // 00000000B1CC: BEFE015C
	v_add_u32_e32 v5, s46, v5                                  // 00000000B1D0: 680A0A2E
	s_mov_b64 exec, s[96:97]                                   // 00000000B1D4: BEFE0160
	buffer_store_dwordx4 v[72:75], v5, s[36:39], 0 idxen       // 00000000B1D8: E07C2000 80094805
	s_mov_b64 exec, s[92:93]                                   // 00000000B1E0: BEFE015C
	v_add_u32_e32 v5, s46, v5                                  // 00000000B1E4: 680A0A2E
	s_mov_b64 exec, s[96:97]                                   // 00000000B1E8: BEFE0160
	buffer_store_dwordx4 v[76:79], v5, s[36:39], 0 idxen       // 00000000B1EC: E07C2000 80094C05
	s_mov_b64 exec, s[92:93]                                   // 00000000B1F4: BEFE015C
	v_add_u32_e32 v5, s46, v5                                  // 00000000B1F8: 680A0A2E
	s_mul_i32 s60, 12, s46                                     // 00000000B1FC: 923C2E8C
	v_add_u32_e32 v5, s60, v5                                  // 00000000B200: 680A0A3C
	s_barrier                                                  // 00000000B204: BF8A0000
	s_cmp_ge_i32 2, s72                                        // 00000000B208: BF034882
	s_cbranch_scc1 label_1ED0                                  // 00000000B20C: BF8501CC
	v_accvgpr_read_b32 v30, a224                               // 00000000B210: D3D8401E 180001E0
	v_accvgpr_read_b32 v31, a225                               // 00000000B218: D3D8401F 180001E1
	v_mul_f32_e32 v30, s48, v30                                // 00000000B220: 0A3C3C30
	v_mul_f32_e32 v31, s48, v31                                // 00000000B224: 0A3E3E30
	v_cmp_u_f32_e64 s[78:79], v30, v30                         // 00000000B228: D048004E 00023D1E
	v_bfe_u32 v248, v30, 16, 1                                 // 00000000B230: D1C800F8 0205211E
	v_add3_u32 v248, v30, v248, v251                           // 00000000B238: D1FF00F8 07EFF11E
	v_cndmask_b32_e64 v28, v248, v250, s[78:79]                // 00000000B240: D100001C 013BF5F8
	v_lshrrev_b32_e32 v28, 16, v28                             // 00000000B248: 20383890
	v_cmp_u_f32_e64 s[78:79], v31, v31                         // 00000000B24C: D048004E 00023F1F
	v_bfe_u32 v248, v31, 16, 1                                 // 00000000B254: D1C800F8 0205211F
	v_add3_u32 v248, v31, v248, v251                           // 00000000B25C: D1FF00F8 07EFF11F
	v_cndmask_b32_e64 v29, v248, v250, s[78:79]                // 00000000B264: D100001D 013BF5F8
	v_and_or_b32 v80, v29, v249, v28                           // 00000000B26C: D2010050 0473F31D
	v_accvgpr_read_b32 v30, a226                               // 00000000B274: D3D8401E 180001E2
	v_accvgpr_read_b32 v31, a227                               // 00000000B27C: D3D8401F 180001E3
	v_mul_f32_e32 v30, s48, v30                                // 00000000B284: 0A3C3C30
	v_mul_f32_e32 v31, s48, v31                                // 00000000B288: 0A3E3E30
	v_cmp_u_f32_e64 s[78:79], v30, v30                         // 00000000B28C: D048004E 00023D1E
	v_bfe_u32 v248, v30, 16, 1                                 // 00000000B294: D1C800F8 0205211E
	v_add3_u32 v248, v30, v248, v251                           // 00000000B29C: D1FF00F8 07EFF11E
	v_cndmask_b32_e64 v28, v248, v250, s[78:79]                // 00000000B2A4: D100001C 013BF5F8
	v_lshrrev_b32_e32 v28, 16, v28                             // 00000000B2AC: 20383890
	v_cmp_u_f32_e64 s[78:79], v31, v31                         // 00000000B2B0: D048004E 00023F1F
	v_bfe_u32 v248, v31, 16, 1                                 // 00000000B2B8: D1C800F8 0205211F
	v_add3_u32 v248, v31, v248, v251                           // 00000000B2C0: D1FF00F8 07EFF11F
	v_cndmask_b32_e64 v29, v248, v250, s[78:79]                // 00000000B2C8: D100001D 013BF5F8
	v_and_or_b32 v81, v29, v249, v28                           // 00000000B2D0: D2010051 0473F31D
	v_accvgpr_read_b32 v30, a228                               // 00000000B2D8: D3D8401E 180001E4
	v_accvgpr_read_b32 v31, a229                               // 00000000B2E0: D3D8401F 180001E5
	v_mul_f32_e32 v30, s48, v30                                // 00000000B2E8: 0A3C3C30
	v_mul_f32_e32 v31, s48, v31                                // 00000000B2EC: 0A3E3E30
	v_cmp_u_f32_e64 s[78:79], v30, v30                         // 00000000B2F0: D048004E 00023D1E
	v_bfe_u32 v248, v30, 16, 1                                 // 00000000B2F8: D1C800F8 0205211E
	v_add3_u32 v248, v30, v248, v251                           // 00000000B300: D1FF00F8 07EFF11E
	v_cndmask_b32_e64 v28, v248, v250, s[78:79]                // 00000000B308: D100001C 013BF5F8
	v_lshrrev_b32_e32 v28, 16, v28                             // 00000000B310: 20383890
	v_cmp_u_f32_e64 s[78:79], v31, v31                         // 00000000B314: D048004E 00023F1F
	v_bfe_u32 v248, v31, 16, 1                                 // 00000000B31C: D1C800F8 0205211F
	v_add3_u32 v248, v31, v248, v251                           // 00000000B324: D1FF00F8 07EFF11F
	v_cndmask_b32_e64 v29, v248, v250, s[78:79]                // 00000000B32C: D100001D 013BF5F8
	v_and_or_b32 v82, v29, v249, v28                           // 00000000B334: D2010052 0473F31D
	v_accvgpr_read_b32 v30, a230                               // 00000000B33C: D3D8401E 180001E6
	v_accvgpr_read_b32 v31, a231                               // 00000000B344: D3D8401F 180001E7
	v_mul_f32_e32 v30, s48, v30                                // 00000000B34C: 0A3C3C30
	v_mul_f32_e32 v31, s48, v31                                // 00000000B350: 0A3E3E30
	v_cmp_u_f32_e64 s[78:79], v30, v30                         // 00000000B354: D048004E 00023D1E
	v_bfe_u32 v248, v30, 16, 1                                 // 00000000B35C: D1C800F8 0205211E
	v_add3_u32 v248, v30, v248, v251                           // 00000000B364: D1FF00F8 07EFF11E
	v_cndmask_b32_e64 v28, v248, v250, s[78:79]                // 00000000B36C: D100001C 013BF5F8
	v_lshrrev_b32_e32 v28, 16, v28                             // 00000000B374: 20383890
	v_cmp_u_f32_e64 s[78:79], v31, v31                         // 00000000B378: D048004E 00023F1F
	v_bfe_u32 v248, v31, 16, 1                                 // 00000000B380: D1C800F8 0205211F
	v_add3_u32 v248, v31, v248, v251                           // 00000000B388: D1FF00F8 07EFF11F
	v_cndmask_b32_e64 v29, v248, v250, s[78:79]                // 00000000B390: D100001D 013BF5F8
	v_and_or_b32 v83, v29, v249, v28                           // 00000000B398: D2010053 0473F31D
	v_accvgpr_read_b32 v30, a232                               // 00000000B3A0: D3D8401E 180001E8
	v_accvgpr_read_b32 v31, a233                               // 00000000B3A8: D3D8401F 180001E9
	v_mul_f32_e32 v30, s48, v30                                // 00000000B3B0: 0A3C3C30
	v_mul_f32_e32 v31, s48, v31                                // 00000000B3B4: 0A3E3E30
	v_cmp_u_f32_e64 s[78:79], v30, v30                         // 00000000B3B8: D048004E 00023D1E
	v_bfe_u32 v248, v30, 16, 1                                 // 00000000B3C0: D1C800F8 0205211E
	v_add3_u32 v248, v30, v248, v251                           // 00000000B3C8: D1FF00F8 07EFF11E
	v_cndmask_b32_e64 v28, v248, v250, s[78:79]                // 00000000B3D0: D100001C 013BF5F8
	v_lshrrev_b32_e32 v28, 16, v28                             // 00000000B3D8: 20383890
	v_cmp_u_f32_e64 s[78:79], v31, v31                         // 00000000B3DC: D048004E 00023F1F
	v_bfe_u32 v248, v31, 16, 1                                 // 00000000B3E4: D1C800F8 0205211F
	v_add3_u32 v248, v31, v248, v251                           // 00000000B3EC: D1FF00F8 07EFF11F
	v_cndmask_b32_e64 v29, v248, v250, s[78:79]                // 00000000B3F4: D100001D 013BF5F8
	v_and_or_b32 v84, v29, v249, v28                           // 00000000B3FC: D2010054 0473F31D
	v_accvgpr_read_b32 v30, a234                               // 00000000B404: D3D8401E 180001EA
	v_accvgpr_read_b32 v31, a235                               // 00000000B40C: D3D8401F 180001EB
	v_mul_f32_e32 v30, s48, v30                                // 00000000B414: 0A3C3C30
	v_mul_f32_e32 v31, s48, v31                                // 00000000B418: 0A3E3E30
	v_cmp_u_f32_e64 s[78:79], v30, v30                         // 00000000B41C: D048004E 00023D1E
	v_bfe_u32 v248, v30, 16, 1                                 // 00000000B424: D1C800F8 0205211E
	v_add3_u32 v248, v30, v248, v251                           // 00000000B42C: D1FF00F8 07EFF11E
	v_cndmask_b32_e64 v28, v248, v250, s[78:79]                // 00000000B434: D100001C 013BF5F8
	v_lshrrev_b32_e32 v28, 16, v28                             // 00000000B43C: 20383890
	v_cmp_u_f32_e64 s[78:79], v31, v31                         // 00000000B440: D048004E 00023F1F
	v_bfe_u32 v248, v31, 16, 1                                 // 00000000B448: D1C800F8 0205211F
	v_add3_u32 v248, v31, v248, v251                           // 00000000B450: D1FF00F8 07EFF11F
	v_cndmask_b32_e64 v29, v248, v250, s[78:79]                // 00000000B458: D100001D 013BF5F8
	v_and_or_b32 v85, v29, v249, v28                           // 00000000B460: D2010055 0473F31D
	v_accvgpr_read_b32 v30, a236                               // 00000000B468: D3D8401E 180001EC
	v_accvgpr_read_b32 v31, a237                               // 00000000B470: D3D8401F 180001ED
	v_mul_f32_e32 v30, s48, v30                                // 00000000B478: 0A3C3C30
	v_mul_f32_e32 v31, s48, v31                                // 00000000B47C: 0A3E3E30
	v_cmp_u_f32_e64 s[78:79], v30, v30                         // 00000000B480: D048004E 00023D1E
	v_bfe_u32 v248, v30, 16, 1                                 // 00000000B488: D1C800F8 0205211E
	v_add3_u32 v248, v30, v248, v251                           // 00000000B490: D1FF00F8 07EFF11E
	v_cndmask_b32_e64 v28, v248, v250, s[78:79]                // 00000000B498: D100001C 013BF5F8
	v_lshrrev_b32_e32 v28, 16, v28                             // 00000000B4A0: 20383890
	v_cmp_u_f32_e64 s[78:79], v31, v31                         // 00000000B4A4: D048004E 00023F1F
	v_bfe_u32 v248, v31, 16, 1                                 // 00000000B4AC: D1C800F8 0205211F
	v_add3_u32 v248, v31, v248, v251                           // 00000000B4B4: D1FF00F8 07EFF11F
	v_cndmask_b32_e64 v29, v248, v250, s[78:79]                // 00000000B4BC: D100001D 013BF5F8
	v_and_or_b32 v86, v29, v249, v28                           // 00000000B4C4: D2010056 0473F31D
	v_accvgpr_read_b32 v30, a238                               // 00000000B4CC: D3D8401E 180001EE
	v_accvgpr_read_b32 v31, a239                               // 00000000B4D4: D3D8401F 180001EF
	v_mul_f32_e32 v30, s48, v30                                // 00000000B4DC: 0A3C3C30
	v_mul_f32_e32 v31, s48, v31                                // 00000000B4E0: 0A3E3E30
	v_cmp_u_f32_e64 s[78:79], v30, v30                         // 00000000B4E4: D048004E 00023D1E
	v_bfe_u32 v248, v30, 16, 1                                 // 00000000B4EC: D1C800F8 0205211E
	v_add3_u32 v248, v30, v248, v251                           // 00000000B4F4: D1FF00F8 07EFF11E
	v_cndmask_b32_e64 v28, v248, v250, s[78:79]                // 00000000B4FC: D100001C 013BF5F8
	v_lshrrev_b32_e32 v28, 16, v28                             // 00000000B504: 20383890
	v_cmp_u_f32_e64 s[78:79], v31, v31                         // 00000000B508: D048004E 00023F1F
	v_bfe_u32 v248, v31, 16, 1                                 // 00000000B510: D1C800F8 0205211F
	v_add3_u32 v248, v31, v248, v251                           // 00000000B518: D1FF00F8 07EFF11F
	v_cndmask_b32_e64 v29, v248, v250, s[78:79]                // 00000000B520: D100001D 013BF5F8
	v_and_or_b32 v87, v29, v249, v28                           // 00000000B528: D2010057 0473F31D
	v_accvgpr_read_b32 v30, a240                               // 00000000B530: D3D8401E 180001F0
	v_accvgpr_read_b32 v31, a241                               // 00000000B538: D3D8401F 180001F1
	v_mul_f32_e32 v30, s48, v30                                // 00000000B540: 0A3C3C30
	v_mul_f32_e32 v31, s48, v31                                // 00000000B544: 0A3E3E30
	v_cmp_u_f32_e64 s[78:79], v30, v30                         // 00000000B548: D048004E 00023D1E
	v_bfe_u32 v248, v30, 16, 1                                 // 00000000B550: D1C800F8 0205211E
	v_add3_u32 v248, v30, v248, v251                           // 00000000B558: D1FF00F8 07EFF11E
	v_cndmask_b32_e64 v28, v248, v250, s[78:79]                // 00000000B560: D100001C 013BF5F8
	v_lshrrev_b32_e32 v28, 16, v28                             // 00000000B568: 20383890
	v_cmp_u_f32_e64 s[78:79], v31, v31                         // 00000000B56C: D048004E 00023F1F
	v_bfe_u32 v248, v31, 16, 1                                 // 00000000B574: D1C800F8 0205211F
	v_add3_u32 v248, v31, v248, v251                           // 00000000B57C: D1FF00F8 07EFF11F
	v_cndmask_b32_e64 v29, v248, v250, s[78:79]                // 00000000B584: D100001D 013BF5F8
	v_and_or_b32 v88, v29, v249, v28                           // 00000000B58C: D2010058 0473F31D
	v_accvgpr_read_b32 v30, a242                               // 00000000B594: D3D8401E 180001F2
	v_accvgpr_read_b32 v31, a243                               // 00000000B59C: D3D8401F 180001F3
	v_mul_f32_e32 v30, s48, v30                                // 00000000B5A4: 0A3C3C30
	v_mul_f32_e32 v31, s48, v31                                // 00000000B5A8: 0A3E3E30
	v_cmp_u_f32_e64 s[78:79], v30, v30                         // 00000000B5AC: D048004E 00023D1E
	v_bfe_u32 v248, v30, 16, 1                                 // 00000000B5B4: D1C800F8 0205211E
	v_add3_u32 v248, v30, v248, v251                           // 00000000B5BC: D1FF00F8 07EFF11E
	v_cndmask_b32_e64 v28, v248, v250, s[78:79]                // 00000000B5C4: D100001C 013BF5F8
	v_lshrrev_b32_e32 v28, 16, v28                             // 00000000B5CC: 20383890
	v_cmp_u_f32_e64 s[78:79], v31, v31                         // 00000000B5D0: D048004E 00023F1F
	v_bfe_u32 v248, v31, 16, 1                                 // 00000000B5D8: D1C800F8 0205211F
	v_add3_u32 v248, v31, v248, v251                           // 00000000B5E0: D1FF00F8 07EFF11F
	v_cndmask_b32_e64 v29, v248, v250, s[78:79]                // 00000000B5E8: D100001D 013BF5F8
	v_and_or_b32 v89, v29, v249, v28                           // 00000000B5F0: D2010059 0473F31D
	v_accvgpr_read_b32 v30, a244                               // 00000000B5F8: D3D8401E 180001F4
	v_accvgpr_read_b32 v31, a245                               // 00000000B600: D3D8401F 180001F5
	v_mul_f32_e32 v30, s48, v30                                // 00000000B608: 0A3C3C30
	v_mul_f32_e32 v31, s48, v31                                // 00000000B60C: 0A3E3E30
	v_cmp_u_f32_e64 s[78:79], v30, v30                         // 00000000B610: D048004E 00023D1E
	v_bfe_u32 v248, v30, 16, 1                                 // 00000000B618: D1C800F8 0205211E
	v_add3_u32 v248, v30, v248, v251                           // 00000000B620: D1FF00F8 07EFF11E
	v_cndmask_b32_e64 v28, v248, v250, s[78:79]                // 00000000B628: D100001C 013BF5F8
	v_lshrrev_b32_e32 v28, 16, v28                             // 00000000B630: 20383890
	v_cmp_u_f32_e64 s[78:79], v31, v31                         // 00000000B634: D048004E 00023F1F
	v_bfe_u32 v248, v31, 16, 1                                 // 00000000B63C: D1C800F8 0205211F
	v_add3_u32 v248, v31, v248, v251                           // 00000000B644: D1FF00F8 07EFF11F
	v_cndmask_b32_e64 v29, v248, v250, s[78:79]                // 00000000B64C: D100001D 013BF5F8
	v_and_or_b32 v90, v29, v249, v28                           // 00000000B654: D201005A 0473F31D
	v_accvgpr_read_b32 v30, a246                               // 00000000B65C: D3D8401E 180001F6
	v_accvgpr_read_b32 v31, a247                               // 00000000B664: D3D8401F 180001F7
	v_mul_f32_e32 v30, s48, v30                                // 00000000B66C: 0A3C3C30
	v_mul_f32_e32 v31, s48, v31                                // 00000000B670: 0A3E3E30
	v_cmp_u_f32_e64 s[78:79], v30, v30                         // 00000000B674: D048004E 00023D1E
	v_bfe_u32 v248, v30, 16, 1                                 // 00000000B67C: D1C800F8 0205211E
	v_add3_u32 v248, v30, v248, v251                           // 00000000B684: D1FF00F8 07EFF11E
	v_cndmask_b32_e64 v28, v248, v250, s[78:79]                // 00000000B68C: D100001C 013BF5F8
	v_lshrrev_b32_e32 v28, 16, v28                             // 00000000B694: 20383890
	v_cmp_u_f32_e64 s[78:79], v31, v31                         // 00000000B698: D048004E 00023F1F
	v_bfe_u32 v248, v31, 16, 1                                 // 00000000B6A0: D1C800F8 0205211F
	v_add3_u32 v248, v31, v248, v251                           // 00000000B6A8: D1FF00F8 07EFF11F
	v_cndmask_b32_e64 v29, v248, v250, s[78:79]                // 00000000B6B0: D100001D 013BF5F8
	v_and_or_b32 v91, v29, v249, v28                           // 00000000B6B8: D201005B 0473F31D
	v_accvgpr_read_b32 v30, a248                               // 00000000B6C0: D3D8401E 180001F8
	v_accvgpr_read_b32 v31, a249                               // 00000000B6C8: D3D8401F 180001F9
	v_mul_f32_e32 v30, s48, v30                                // 00000000B6D0: 0A3C3C30
	v_mul_f32_e32 v31, s48, v31                                // 00000000B6D4: 0A3E3E30
	v_cmp_u_f32_e64 s[78:79], v30, v30                         // 00000000B6D8: D048004E 00023D1E
	v_bfe_u32 v248, v30, 16, 1                                 // 00000000B6E0: D1C800F8 0205211E
	v_add3_u32 v248, v30, v248, v251                           // 00000000B6E8: D1FF00F8 07EFF11E
	v_cndmask_b32_e64 v28, v248, v250, s[78:79]                // 00000000B6F0: D100001C 013BF5F8
	v_lshrrev_b32_e32 v28, 16, v28                             // 00000000B6F8: 20383890
	v_cmp_u_f32_e64 s[78:79], v31, v31                         // 00000000B6FC: D048004E 00023F1F
	v_bfe_u32 v248, v31, 16, 1                                 // 00000000B704: D1C800F8 0205211F
	v_add3_u32 v248, v31, v248, v251                           // 00000000B70C: D1FF00F8 07EFF11F
	v_cndmask_b32_e64 v29, v248, v250, s[78:79]                // 00000000B714: D100001D 013BF5F8
	v_and_or_b32 v92, v29, v249, v28                           // 00000000B71C: D201005C 0473F31D
	v_accvgpr_read_b32 v30, a250                               // 00000000B724: D3D8401E 180001FA
	v_accvgpr_read_b32 v31, a251                               // 00000000B72C: D3D8401F 180001FB
	v_mul_f32_e32 v30, s48, v30                                // 00000000B734: 0A3C3C30
	v_mul_f32_e32 v31, s48, v31                                // 00000000B738: 0A3E3E30
	v_cmp_u_f32_e64 s[78:79], v30, v30                         // 00000000B73C: D048004E 00023D1E
	v_bfe_u32 v248, v30, 16, 1                                 // 00000000B744: D1C800F8 0205211E
	v_add3_u32 v248, v30, v248, v251                           // 00000000B74C: D1FF00F8 07EFF11E
	v_cndmask_b32_e64 v28, v248, v250, s[78:79]                // 00000000B754: D100001C 013BF5F8
	v_lshrrev_b32_e32 v28, 16, v28                             // 00000000B75C: 20383890
	v_cmp_u_f32_e64 s[78:79], v31, v31                         // 00000000B760: D048004E 00023F1F
	v_bfe_u32 v248, v31, 16, 1                                 // 00000000B768: D1C800F8 0205211F
	v_add3_u32 v248, v31, v248, v251                           // 00000000B770: D1FF00F8 07EFF11F
	v_cndmask_b32_e64 v29, v248, v250, s[78:79]                // 00000000B778: D100001D 013BF5F8
	v_and_or_b32 v93, v29, v249, v28                           // 00000000B780: D201005D 0473F31D
	v_accvgpr_read_b32 v30, a252                               // 00000000B788: D3D8401E 180001FC
	v_accvgpr_read_b32 v31, a253                               // 00000000B790: D3D8401F 180001FD
	v_mul_f32_e32 v30, s48, v30                                // 00000000B798: 0A3C3C30
	v_mul_f32_e32 v31, s48, v31                                // 00000000B79C: 0A3E3E30
	v_cmp_u_f32_e64 s[78:79], v30, v30                         // 00000000B7A0: D048004E 00023D1E
	v_bfe_u32 v248, v30, 16, 1                                 // 00000000B7A8: D1C800F8 0205211E
	v_add3_u32 v248, v30, v248, v251                           // 00000000B7B0: D1FF00F8 07EFF11E
	v_cndmask_b32_e64 v28, v248, v250, s[78:79]                // 00000000B7B8: D100001C 013BF5F8
	v_lshrrev_b32_e32 v28, 16, v28                             // 00000000B7C0: 20383890
	v_cmp_u_f32_e64 s[78:79], v31, v31                         // 00000000B7C4: D048004E 00023F1F
	v_bfe_u32 v248, v31, 16, 1                                 // 00000000B7CC: D1C800F8 0205211F
	v_add3_u32 v248, v31, v248, v251                           // 00000000B7D4: D1FF00F8 07EFF11F
	v_cndmask_b32_e64 v29, v248, v250, s[78:79]                // 00000000B7DC: D100001D 013BF5F8
	v_and_or_b32 v94, v29, v249, v28                           // 00000000B7E4: D201005E 0473F31D
	v_accvgpr_read_b32 v30, a254                               // 00000000B7EC: D3D8401E 180001FE
	v_accvgpr_read_b32 v31, a255                               // 00000000B7F4: D3D8401F 180001FF
	v_mul_f32_e32 v30, s48, v30                                // 00000000B7FC: 0A3C3C30
	v_mul_f32_e32 v31, s48, v31                                // 00000000B800: 0A3E3E30
	v_cmp_u_f32_e64 s[78:79], v30, v30                         // 00000000B804: D048004E 00023D1E
	v_bfe_u32 v248, v30, 16, 1                                 // 00000000B80C: D1C800F8 0205211E
	v_add3_u32 v248, v30, v248, v251                           // 00000000B814: D1FF00F8 07EFF11E
	v_cndmask_b32_e64 v28, v248, v250, s[78:79]                // 00000000B81C: D100001C 013BF5F8
	v_lshrrev_b32_e32 v28, 16, v28                             // 00000000B824: 20383890
	v_cmp_u_f32_e64 s[78:79], v31, v31                         // 00000000B828: D048004E 00023F1F
	v_bfe_u32 v248, v31, 16, 1                                 // 00000000B830: D1C800F8 0205211F
	v_add3_u32 v248, v31, v248, v251                           // 00000000B838: D1FF00F8 07EFF11F
	v_cndmask_b32_e64 v29, v248, v250, s[78:79]                // 00000000B840: D100001D 013BF5F8
	v_and_or_b32 v95, v29, v249, v28                           // 00000000B848: D201005F 0473F31D
	ds_write_b64 v27, v[80:81] offset:33792                    // 00000000B850: D89A8400 0000501B
	ds_write_b64 v27, v[82:83] offset:34320                    // 00000000B858: D89A8610 0000521B
	ds_write_b64 v27, v[84:85] offset:34848                    // 00000000B860: D89A8820 0000541B
	ds_write_b64 v27, v[86:87] offset:35376                    // 00000000B868: D89A8A30 0000561B
	ds_write_b64 v27, v[88:89] offset:35904                    // 00000000B870: D89A8C40 0000581B
	ds_write_b64 v27, v[90:91] offset:36432                    // 00000000B878: D89A8E50 00005A1B
	ds_write_b64 v27, v[92:93] offset:36960                    // 00000000B880: D89A9060 00005C1B
	ds_write_b64 v27, v[94:95] offset:37488                    // 00000000B888: D89A9270 00005E1B
	s_waitcnt lgkmcnt(0)                                       // 00000000B890: BF8CC07F
	s_barrier                                                  // 00000000B894: BF8A0000
	ds_read_b64 v[80:81], v26 offset:33792                     // 00000000B898: D8EC8400 5000001A
	ds_read_b64 v[82:83], v26 offset:33920                     // 00000000B8A0: D8EC8480 5200001A
	ds_read_b64 v[84:85], v26 offset:33824                     // 00000000B8A8: D8EC8420 5400001A
	ds_read_b64 v[86:87], v26 offset:33952                     // 00000000B8B0: D8EC84A0 5600001A
	ds_read_b64 v[88:89], v26 offset:33856                     // 00000000B8B8: D8EC8440 5800001A
	ds_read_b64 v[90:91], v26 offset:33984                     // 00000000B8C0: D8EC84C0 5A00001A
	ds_read_b64 v[92:93], v26 offset:33888                     // 00000000B8C8: D8EC8460 5C00001A
	ds_read_b64 v[94:95], v26 offset:34016                     // 00000000B8D0: D8EC84E0 5E00001A
	s_waitcnt lgkmcnt(0)                                       // 00000000B8D8: BF8CC07F
	s_mov_b64 exec, s[96:97]                                   // 00000000B8DC: BEFE0160
	buffer_store_dwordx4 v[80:83], v5, s[36:39], 0 idxen       // 00000000B8E0: E07C2000 80095005
	s_mov_b64 exec, s[92:93]                                   // 00000000B8E8: BEFE015C
	v_add_u32_e32 v5, s46, v5                                  // 00000000B8EC: 680A0A2E
	s_mov_b64 exec, s[96:97]                                   // 00000000B8F0: BEFE0160
	buffer_store_dwordx4 v[84:87], v5, s[36:39], 0 idxen       // 00000000B8F4: E07C2000 80095405
	s_mov_b64 exec, s[92:93]                                   // 00000000B8FC: BEFE015C
	v_add_u32_e32 v5, s46, v5                                  // 00000000B900: 680A0A2E
	s_mov_b64 exec, s[96:97]                                   // 00000000B904: BEFE0160
	buffer_store_dwordx4 v[88:91], v5, s[36:39], 0 idxen       // 00000000B908: E07C2000 80095805
	s_mov_b64 exec, s[92:93]                                   // 00000000B910: BEFE015C
	v_add_u32_e32 v5, s46, v5                                  // 00000000B914: 680A0A2E
	s_mov_b64 exec, s[96:97]                                   // 00000000B918: BEFE0160
	buffer_store_dwordx4 v[92:95], v5, s[36:39], 0 idxen       // 00000000B91C: E07C2000 80095C05
	s_mov_b64 exec, s[92:93]                                   // 00000000B924: BEFE015C
	v_add_u32_e32 v5, s46, v5                                  // 00000000B928: 680A0A2E
	s_mul_i32 s60, 12, s46                                     // 00000000B92C: 923C2E8C
	v_add_u32_e32 v5, s60, v5                                  // 00000000B930: 680A0A3C
	s_barrier                                                  // 00000000B934: BF8A0000
	s_cmp_ge_i32 3, s72                                        // 00000000B938: BF034883
	s_cbranch_scc1 label_1ED0                                  // 00000000B93C: BF850000

000000000000b940 <label_1ED0>:
	v_mov_b32_e32 v30, v152                                    // 00000000B940: 7E3C0398
	v_mov_b32_e32 v31, v153                                    // 00000000B944: 7E3E0399
	v_cmp_u_f32_e64 s[78:79], v30, v30                         // 00000000B948: D048004E 00023D1E
	v_bfe_u32 v248, v30, 16, 1                                 // 00000000B950: D1C800F8 0205211E
	v_add3_u32 v248, v30, v248, v251                           // 00000000B958: D1FF00F8 07EFF11E
	v_cndmask_b32_e64 v28, v248, v250, s[78:79]                // 00000000B960: D100001C 013BF5F8
	v_lshrrev_b32_e32 v28, 16, v28                             // 00000000B968: 20383890
	v_cmp_u_f32_e64 s[78:79], v31, v31                         // 00000000B96C: D048004E 00023F1F
	v_bfe_u32 v248, v31, 16, 1                                 // 00000000B974: D1C800F8 0205211F
	v_add3_u32 v248, v31, v248, v251                           // 00000000B97C: D1FF00F8 07EFF11F
	v_cndmask_b32_e64 v29, v248, v250, s[78:79]                // 00000000B984: D100001D 013BF5F8
	v_and_or_b32 v152, v29, v249, v28                          // 00000000B98C: D2010098 0473F31D
	v_mov_b32_e32 v30, v154                                    // 00000000B994: 7E3C039A
	v_mov_b32_e32 v31, v155                                    // 00000000B998: 7E3E039B
	v_cmp_u_f32_e64 s[78:79], v30, v30                         // 00000000B99C: D048004E 00023D1E
	v_bfe_u32 v248, v30, 16, 1                                 // 00000000B9A4: D1C800F8 0205211E
	v_add3_u32 v248, v30, v248, v251                           // 00000000B9AC: D1FF00F8 07EFF11E
	v_cndmask_b32_e64 v28, v248, v250, s[78:79]                // 00000000B9B4: D100001C 013BF5F8
	v_lshrrev_b32_e32 v28, 16, v28                             // 00000000B9BC: 20383890
	v_cmp_u_f32_e64 s[78:79], v31, v31                         // 00000000B9C0: D048004E 00023F1F
	v_bfe_u32 v248, v31, 16, 1                                 // 00000000B9C8: D1C800F8 0205211F
	v_add3_u32 v248, v31, v248, v251                           // 00000000B9D0: D1FF00F8 07EFF11F
	v_cndmask_b32_e64 v29, v248, v250, s[78:79]                // 00000000B9D8: D100001D 013BF5F8
	v_and_or_b32 v153, v29, v249, v28                          // 00000000B9E0: D2010099 0473F31D
	v_mov_b32_e32 v30, v156                                    // 00000000B9E8: 7E3C039C
	v_mov_b32_e32 v31, v157                                    // 00000000B9EC: 7E3E039D
	v_cmp_u_f32_e64 s[78:79], v30, v30                         // 00000000B9F0: D048004E 00023D1E
	v_bfe_u32 v248, v30, 16, 1                                 // 00000000B9F8: D1C800F8 0205211E
	v_add3_u32 v248, v30, v248, v251                           // 00000000BA00: D1FF00F8 07EFF11E
	v_cndmask_b32_e64 v28, v248, v250, s[78:79]                // 00000000BA08: D100001C 013BF5F8
	v_lshrrev_b32_e32 v28, 16, v28                             // 00000000BA10: 20383890
	v_cmp_u_f32_e64 s[78:79], v31, v31                         // 00000000BA14: D048004E 00023F1F
	v_bfe_u32 v248, v31, 16, 1                                 // 00000000BA1C: D1C800F8 0205211F
	v_add3_u32 v248, v31, v248, v251                           // 00000000BA24: D1FF00F8 07EFF11F
	v_cndmask_b32_e64 v29, v248, v250, s[78:79]                // 00000000BA2C: D100001D 013BF5F8
	v_and_or_b32 v154, v29, v249, v28                          // 00000000BA34: D201009A 0473F31D
	v_mov_b32_e32 v30, v158                                    // 00000000BA3C: 7E3C039E
	v_mov_b32_e32 v31, v159                                    // 00000000BA40: 7E3E039F
	v_cmp_u_f32_e64 s[78:79], v30, v30                         // 00000000BA44: D048004E 00023D1E
	v_bfe_u32 v248, v30, 16, 1                                 // 00000000BA4C: D1C800F8 0205211E
	v_add3_u32 v248, v30, v248, v251                           // 00000000BA54: D1FF00F8 07EFF11E
	v_cndmask_b32_e64 v28, v248, v250, s[78:79]                // 00000000BA5C: D100001C 013BF5F8
	v_lshrrev_b32_e32 v28, 16, v28                             // 00000000BA64: 20383890
	v_cmp_u_f32_e64 s[78:79], v31, v31                         // 00000000BA68: D048004E 00023F1F
	v_bfe_u32 v248, v31, 16, 1                                 // 00000000BA70: D1C800F8 0205211F
	v_add3_u32 v248, v31, v248, v251                           // 00000000BA78: D1FF00F8 07EFF11F
	v_cndmask_b32_e64 v29, v248, v250, s[78:79]                // 00000000BA80: D100001D 013BF5F8
	v_and_or_b32 v155, v29, v249, v28                          // 00000000BA88: D201009B 0473F31D
	v_mov_b32_e32 v30, v160                                    // 00000000BA90: 7E3C03A0
	v_mov_b32_e32 v31, v161                                    // 00000000BA94: 7E3E03A1
	v_cmp_u_f32_e64 s[78:79], v30, v30                         // 00000000BA98: D048004E 00023D1E
	v_bfe_u32 v248, v30, 16, 1                                 // 00000000BAA0: D1C800F8 0205211E
	v_add3_u32 v248, v30, v248, v251                           // 00000000BAA8: D1FF00F8 07EFF11E
	v_cndmask_b32_e64 v28, v248, v250, s[78:79]                // 00000000BAB0: D100001C 013BF5F8
	v_lshrrev_b32_e32 v28, 16, v28                             // 00000000BAB8: 20383890
	v_cmp_u_f32_e64 s[78:79], v31, v31                         // 00000000BABC: D048004E 00023F1F
	v_bfe_u32 v248, v31, 16, 1                                 // 00000000BAC4: D1C800F8 0205211F
	v_add3_u32 v248, v31, v248, v251                           // 00000000BACC: D1FF00F8 07EFF11F
	v_cndmask_b32_e64 v29, v248, v250, s[78:79]                // 00000000BAD4: D100001D 013BF5F8
	v_and_or_b32 v156, v29, v249, v28                          // 00000000BADC: D201009C 0473F31D
	v_mov_b32_e32 v30, v162                                    // 00000000BAE4: 7E3C03A2
	v_mov_b32_e32 v31, v163                                    // 00000000BAE8: 7E3E03A3
	v_cmp_u_f32_e64 s[78:79], v30, v30                         // 00000000BAEC: D048004E 00023D1E
	v_bfe_u32 v248, v30, 16, 1                                 // 00000000BAF4: D1C800F8 0205211E
	v_add3_u32 v248, v30, v248, v251                           // 00000000BAFC: D1FF00F8 07EFF11E
	v_cndmask_b32_e64 v28, v248, v250, s[78:79]                // 00000000BB04: D100001C 013BF5F8
	v_lshrrev_b32_e32 v28, 16, v28                             // 00000000BB0C: 20383890
	v_cmp_u_f32_e64 s[78:79], v31, v31                         // 00000000BB10: D048004E 00023F1F
	v_bfe_u32 v248, v31, 16, 1                                 // 00000000BB18: D1C800F8 0205211F
	v_add3_u32 v248, v31, v248, v251                           // 00000000BB20: D1FF00F8 07EFF11F
	v_cndmask_b32_e64 v29, v248, v250, s[78:79]                // 00000000BB28: D100001D 013BF5F8
	v_and_or_b32 v157, v29, v249, v28                          // 00000000BB30: D201009D 0473F31D
	v_mov_b32_e32 v30, v164                                    // 00000000BB38: 7E3C03A4
	v_mov_b32_e32 v31, v165                                    // 00000000BB3C: 7E3E03A5
	v_cmp_u_f32_e64 s[78:79], v30, v30                         // 00000000BB40: D048004E 00023D1E
	v_bfe_u32 v248, v30, 16, 1                                 // 00000000BB48: D1C800F8 0205211E
	v_add3_u32 v248, v30, v248, v251                           // 00000000BB50: D1FF00F8 07EFF11E
	v_cndmask_b32_e64 v28, v248, v250, s[78:79]                // 00000000BB58: D100001C 013BF5F8
	v_lshrrev_b32_e32 v28, 16, v28                             // 00000000BB60: 20383890
	v_cmp_u_f32_e64 s[78:79], v31, v31                         // 00000000BB64: D048004E 00023F1F
	v_bfe_u32 v248, v31, 16, 1                                 // 00000000BB6C: D1C800F8 0205211F
	v_add3_u32 v248, v31, v248, v251                           // 00000000BB74: D1FF00F8 07EFF11F
	v_cndmask_b32_e64 v29, v248, v250, s[78:79]                // 00000000BB7C: D100001D 013BF5F8
	v_and_or_b32 v158, v29, v249, v28                          // 00000000BB84: D201009E 0473F31D
	v_mov_b32_e32 v30, v166                                    // 00000000BB8C: 7E3C03A6
	v_mov_b32_e32 v31, v167                                    // 00000000BB90: 7E3E03A7
	v_cmp_u_f32_e64 s[78:79], v30, v30                         // 00000000BB94: D048004E 00023D1E
	v_bfe_u32 v248, v30, 16, 1                                 // 00000000BB9C: D1C800F8 0205211E
	v_add3_u32 v248, v30, v248, v251                           // 00000000BBA4: D1FF00F8 07EFF11E
	v_cndmask_b32_e64 v28, v248, v250, s[78:79]                // 00000000BBAC: D100001C 013BF5F8
	v_lshrrev_b32_e32 v28, 16, v28                             // 00000000BBB4: 20383890
	v_cmp_u_f32_e64 s[78:79], v31, v31                         // 00000000BBB8: D048004E 00023F1F
	v_bfe_u32 v248, v31, 16, 1                                 // 00000000BBC0: D1C800F8 0205211F
	v_add3_u32 v248, v31, v248, v251                           // 00000000BBC8: D1FF00F8 07EFF11F
	v_cndmask_b32_e64 v29, v248, v250, s[78:79]                // 00000000BBD0: D100001D 013BF5F8
	v_and_or_b32 v159, v29, v249, v28                          // 00000000BBD8: D201009F 0473F31D
	v_mov_b32_e32 v30, v168                                    // 00000000BBE0: 7E3C03A8
	v_mov_b32_e32 v31, v169                                    // 00000000BBE4: 7E3E03A9
	v_cmp_u_f32_e64 s[78:79], v30, v30                         // 00000000BBE8: D048004E 00023D1E
	v_bfe_u32 v248, v30, 16, 1                                 // 00000000BBF0: D1C800F8 0205211E
	v_add3_u32 v248, v30, v248, v251                           // 00000000BBF8: D1FF00F8 07EFF11E
	v_cndmask_b32_e64 v28, v248, v250, s[78:79]                // 00000000BC00: D100001C 013BF5F8
	v_lshrrev_b32_e32 v28, 16, v28                             // 00000000BC08: 20383890
	v_cmp_u_f32_e64 s[78:79], v31, v31                         // 00000000BC0C: D048004E 00023F1F
	v_bfe_u32 v248, v31, 16, 1                                 // 00000000BC14: D1C800F8 0205211F
	v_add3_u32 v248, v31, v248, v251                           // 00000000BC1C: D1FF00F8 07EFF11F
	v_cndmask_b32_e64 v29, v248, v250, s[78:79]                // 00000000BC24: D100001D 013BF5F8
	v_and_or_b32 v160, v29, v249, v28                          // 00000000BC2C: D20100A0 0473F31D
	v_mov_b32_e32 v30, v170                                    // 00000000BC34: 7E3C03AA
	v_mov_b32_e32 v31, v171                                    // 00000000BC38: 7E3E03AB
	v_cmp_u_f32_e64 s[78:79], v30, v30                         // 00000000BC3C: D048004E 00023D1E
	v_bfe_u32 v248, v30, 16, 1                                 // 00000000BC44: D1C800F8 0205211E
	v_add3_u32 v248, v30, v248, v251                           // 00000000BC4C: D1FF00F8 07EFF11E
	v_cndmask_b32_e64 v28, v248, v250, s[78:79]                // 00000000BC54: D100001C 013BF5F8
	v_lshrrev_b32_e32 v28, 16, v28                             // 00000000BC5C: 20383890
	v_cmp_u_f32_e64 s[78:79], v31, v31                         // 00000000BC60: D048004E 00023F1F
	v_bfe_u32 v248, v31, 16, 1                                 // 00000000BC68: D1C800F8 0205211F
	v_add3_u32 v248, v31, v248, v251                           // 00000000BC70: D1FF00F8 07EFF11F
	v_cndmask_b32_e64 v29, v248, v250, s[78:79]                // 00000000BC78: D100001D 013BF5F8
	v_and_or_b32 v161, v29, v249, v28                          // 00000000BC80: D20100A1 0473F31D
	v_mov_b32_e32 v30, v172                                    // 00000000BC88: 7E3C03AC
	v_mov_b32_e32 v31, v173                                    // 00000000BC8C: 7E3E03AD
	v_cmp_u_f32_e64 s[78:79], v30, v30                         // 00000000BC90: D048004E 00023D1E
	v_bfe_u32 v248, v30, 16, 1                                 // 00000000BC98: D1C800F8 0205211E
	v_add3_u32 v248, v30, v248, v251                           // 00000000BCA0: D1FF00F8 07EFF11E
	v_cndmask_b32_e64 v28, v248, v250, s[78:79]                // 00000000BCA8: D100001C 013BF5F8
	v_lshrrev_b32_e32 v28, 16, v28                             // 00000000BCB0: 20383890
	v_cmp_u_f32_e64 s[78:79], v31, v31                         // 00000000BCB4: D048004E 00023F1F
	v_bfe_u32 v248, v31, 16, 1                                 // 00000000BCBC: D1C800F8 0205211F
	v_add3_u32 v248, v31, v248, v251                           // 00000000BCC4: D1FF00F8 07EFF11F
	v_cndmask_b32_e64 v29, v248, v250, s[78:79]                // 00000000BCCC: D100001D 013BF5F8
	v_and_or_b32 v162, v29, v249, v28                          // 00000000BCD4: D20100A2 0473F31D
	v_mov_b32_e32 v30, v174                                    // 00000000BCDC: 7E3C03AE
	v_mov_b32_e32 v31, v175                                    // 00000000BCE0: 7E3E03AF
	v_cmp_u_f32_e64 s[78:79], v30, v30                         // 00000000BCE4: D048004E 00023D1E
	v_bfe_u32 v248, v30, 16, 1                                 // 00000000BCEC: D1C800F8 0205211E
	v_add3_u32 v248, v30, v248, v251                           // 00000000BCF4: D1FF00F8 07EFF11E
	v_cndmask_b32_e64 v28, v248, v250, s[78:79]                // 00000000BCFC: D100001C 013BF5F8
	v_lshrrev_b32_e32 v28, 16, v28                             // 00000000BD04: 20383890
	v_cmp_u_f32_e64 s[78:79], v31, v31                         // 00000000BD08: D048004E 00023F1F
	v_bfe_u32 v248, v31, 16, 1                                 // 00000000BD10: D1C800F8 0205211F
	v_add3_u32 v248, v31, v248, v251                           // 00000000BD18: D1FF00F8 07EFF11F
	v_cndmask_b32_e64 v29, v248, v250, s[78:79]                // 00000000BD20: D100001D 013BF5F8
	v_and_or_b32 v163, v29, v249, v28                          // 00000000BD28: D20100A3 0473F31D
	v_mov_b32_e32 v30, v176                                    // 00000000BD30: 7E3C03B0
	v_mov_b32_e32 v31, v177                                    // 00000000BD34: 7E3E03B1
	v_cmp_u_f32_e64 s[78:79], v30, v30                         // 00000000BD38: D048004E 00023D1E
	v_bfe_u32 v248, v30, 16, 1                                 // 00000000BD40: D1C800F8 0205211E
	v_add3_u32 v248, v30, v248, v251                           // 00000000BD48: D1FF00F8 07EFF11E
	v_cndmask_b32_e64 v28, v248, v250, s[78:79]                // 00000000BD50: D100001C 013BF5F8
	v_lshrrev_b32_e32 v28, 16, v28                             // 00000000BD58: 20383890
	v_cmp_u_f32_e64 s[78:79], v31, v31                         // 00000000BD5C: D048004E 00023F1F
	v_bfe_u32 v248, v31, 16, 1                                 // 00000000BD64: D1C800F8 0205211F
	v_add3_u32 v248, v31, v248, v251                           // 00000000BD6C: D1FF00F8 07EFF11F
	v_cndmask_b32_e64 v29, v248, v250, s[78:79]                // 00000000BD74: D100001D 013BF5F8
	v_and_or_b32 v164, v29, v249, v28                          // 00000000BD7C: D20100A4 0473F31D
	v_mov_b32_e32 v30, v178                                    // 00000000BD84: 7E3C03B2
	v_mov_b32_e32 v31, v179                                    // 00000000BD88: 7E3E03B3
	v_cmp_u_f32_e64 s[78:79], v30, v30                         // 00000000BD8C: D048004E 00023D1E
	v_bfe_u32 v248, v30, 16, 1                                 // 00000000BD94: D1C800F8 0205211E
	v_add3_u32 v248, v30, v248, v251                           // 00000000BD9C: D1FF00F8 07EFF11E
	v_cndmask_b32_e64 v28, v248, v250, s[78:79]                // 00000000BDA4: D100001C 013BF5F8
	v_lshrrev_b32_e32 v28, 16, v28                             // 00000000BDAC: 20383890
	v_cmp_u_f32_e64 s[78:79], v31, v31                         // 00000000BDB0: D048004E 00023F1F
	v_bfe_u32 v248, v31, 16, 1                                 // 00000000BDB8: D1C800F8 0205211F
	v_add3_u32 v248, v31, v248, v251                           // 00000000BDC0: D1FF00F8 07EFF11F
	v_cndmask_b32_e64 v29, v248, v250, s[78:79]                // 00000000BDC8: D100001D 013BF5F8
	v_and_or_b32 v165, v29, v249, v28                          // 00000000BDD0: D20100A5 0473F31D
	v_mov_b32_e32 v30, v180                                    // 00000000BDD8: 7E3C03B4
	v_mov_b32_e32 v31, v181                                    // 00000000BDDC: 7E3E03B5
	v_cmp_u_f32_e64 s[78:79], v30, v30                         // 00000000BDE0: D048004E 00023D1E
	v_bfe_u32 v248, v30, 16, 1                                 // 00000000BDE8: D1C800F8 0205211E
	v_add3_u32 v248, v30, v248, v251                           // 00000000BDF0: D1FF00F8 07EFF11E
	v_cndmask_b32_e64 v28, v248, v250, s[78:79]                // 00000000BDF8: D100001C 013BF5F8
	v_lshrrev_b32_e32 v28, 16, v28                             // 00000000BE00: 20383890
	v_cmp_u_f32_e64 s[78:79], v31, v31                         // 00000000BE04: D048004E 00023F1F
	v_bfe_u32 v248, v31, 16, 1                                 // 00000000BE0C: D1C800F8 0205211F
	v_add3_u32 v248, v31, v248, v251                           // 00000000BE14: D1FF00F8 07EFF11F
	v_cndmask_b32_e64 v29, v248, v250, s[78:79]                // 00000000BE1C: D100001D 013BF5F8
	v_and_or_b32 v166, v29, v249, v28                          // 00000000BE24: D20100A6 0473F31D
	v_mov_b32_e32 v30, v182                                    // 00000000BE2C: 7E3C03B6
	v_mov_b32_e32 v31, v183                                    // 00000000BE30: 7E3E03B7
	v_cmp_u_f32_e64 s[78:79], v30, v30                         // 00000000BE34: D048004E 00023D1E
	v_bfe_u32 v248, v30, 16, 1                                 // 00000000BE3C: D1C800F8 0205211E
	v_add3_u32 v248, v30, v248, v251                           // 00000000BE44: D1FF00F8 07EFF11E
	v_cndmask_b32_e64 v28, v248, v250, s[78:79]                // 00000000BE4C: D100001C 013BF5F8
	v_lshrrev_b32_e32 v28, 16, v28                             // 00000000BE54: 20383890
	v_cmp_u_f32_e64 s[78:79], v31, v31                         // 00000000BE58: D048004E 00023F1F
	v_bfe_u32 v248, v31, 16, 1                                 // 00000000BE60: D1C800F8 0205211F
	v_add3_u32 v248, v31, v248, v251                           // 00000000BE68: D1FF00F8 07EFF11F
	v_cndmask_b32_e64 v29, v248, v250, s[78:79]                // 00000000BE70: D100001D 013BF5F8
	v_and_or_b32 v167, v29, v249, v28                          // 00000000BE78: D20100A7 0473F31D
	ds_write_b64 v27, v[152:153]                               // 00000000BE80: D89A0000 0000981B
	ds_write_b64 v27, v[154:155] offset:528                    // 00000000BE88: D89A0210 00009A1B
	ds_write_b64 v27, v[156:157] offset:1056                   // 00000000BE90: D89A0420 00009C1B
	ds_write_b64 v27, v[158:159] offset:1584                   // 00000000BE98: D89A0630 00009E1B
	ds_write_b64 v27, v[160:161] offset:2112                   // 00000000BEA0: D89A0840 0000A01B
	ds_write_b64 v27, v[162:163] offset:2640                   // 00000000BEA8: D89A0A50 0000A21B
	ds_write_b64 v27, v[164:165] offset:3168                   // 00000000BEB0: D89A0C60 0000A41B
	ds_write_b64 v27, v[166:167] offset:3696                   // 00000000BEB8: D89A0E70 0000A61B
	s_waitcnt lgkmcnt(0)                                       // 00000000BEC0: BF8CC07F
	s_barrier                                                  // 00000000BEC4: BF8A0000
	ds_read_b64 v[152:153], v26                                // 00000000BEC8: D8EC0000 9800001A
	ds_read_b64 v[154:155], v26 offset:128                     // 00000000BED0: D8EC0080 9A00001A
	ds_read_b64 v[156:157], v26 offset:32                      // 00000000BED8: D8EC0020 9C00001A
	ds_read_b64 v[158:159], v26 offset:160                     // 00000000BEE0: D8EC00A0 9E00001A
	ds_read_b64 v[160:161], v26 offset:64                      // 00000000BEE8: D8EC0040 A000001A
	ds_read_b64 v[162:163], v26 offset:192                     // 00000000BEF0: D8EC00C0 A200001A
	ds_read_b64 v[164:165], v26 offset:96                      // 00000000BEF8: D8EC0060 A400001A
	ds_read_b64 v[166:167], v26 offset:224                     // 00000000BF00: D8EC00E0 A600001A
	s_waitcnt lgkmcnt(0)                                       // 00000000BF08: BF8CC07F
	s_mov_b64 exec, s[96:97]                                   // 00000000BF0C: BEFE0160
	buffer_store_dwordx4 v[152:155], v10, s[40:43], 0 idxen    // 00000000BF10: E07C2000 800A980A
	s_mov_b64 exec, s[92:93]                                   // 00000000BF18: BEFE015C
	v_add_u32_e32 v10, s46, v10                                // 00000000BF1C: 6814142E
	s_mov_b64 exec, s[96:97]                                   // 00000000BF20: BEFE0160
	buffer_store_dwordx4 v[156:159], v10, s[40:43], 0 idxen    // 00000000BF24: E07C2000 800A9C0A
	s_mov_b64 exec, s[92:93]                                   // 00000000BF2C: BEFE015C
	v_add_u32_e32 v10, s46, v10                                // 00000000BF30: 6814142E
	s_mov_b64 exec, s[96:97]                                   // 00000000BF34: BEFE0160
	buffer_store_dwordx4 v[160:163], v10, s[40:43], 0 idxen    // 00000000BF38: E07C2000 800AA00A
	s_mov_b64 exec, s[92:93]                                   // 00000000BF40: BEFE015C
	v_add_u32_e32 v10, s46, v10                                // 00000000BF44: 6814142E
	s_mov_b64 exec, s[96:97]                                   // 00000000BF48: BEFE0160
	buffer_store_dwordx4 v[164:167], v10, s[40:43], 0 idxen    // 00000000BF4C: E07C2000 800AA40A
	s_mov_b64 exec, s[92:93]                                   // 00000000BF54: BEFE015C
	v_add_u32_e32 v10, s46, v10                                // 00000000BF58: 6814142E
	s_mul_i32 s60, 12, s46                                     // 00000000BF5C: 923C2E8C
	v_add_u32_e32 v10, s60, v10                                // 00000000BF60: 6814143C
	s_cmp_ge_i32 1, s72                                        // 00000000BF64: BF034881
	s_cbranch_scc1 label_2371                                  // 00000000BF68: BF850316
	v_mov_b32_e32 v30, v184                                    // 00000000BF6C: 7E3C03B8
	v_mov_b32_e32 v31, v185                                    // 00000000BF70: 7E3E03B9
	v_cmp_u_f32_e64 s[78:79], v30, v30                         // 00000000BF74: D048004E 00023D1E
	v_bfe_u32 v248, v30, 16, 1                                 // 00000000BF7C: D1C800F8 0205211E
	v_add3_u32 v248, v30, v248, v251                           // 00000000BF84: D1FF00F8 07EFF11E
	v_cndmask_b32_e64 v28, v248, v250, s[78:79]                // 00000000BF8C: D100001C 013BF5F8
	v_lshrrev_b32_e32 v28, 16, v28                             // 00000000BF94: 20383890
	v_cmp_u_f32_e64 s[78:79], v31, v31                         // 00000000BF98: D048004E 00023F1F
	v_bfe_u32 v248, v31, 16, 1                                 // 00000000BFA0: D1C800F8 0205211F
	v_add3_u32 v248, v31, v248, v251                           // 00000000BFA8: D1FF00F8 07EFF11F
	v_cndmask_b32_e64 v29, v248, v250, s[78:79]                // 00000000BFB0: D100001D 013BF5F8
	v_and_or_b32 v168, v29, v249, v28                          // 00000000BFB8: D20100A8 0473F31D
	v_mov_b32_e32 v30, v186                                    // 00000000BFC0: 7E3C03BA
	v_mov_b32_e32 v31, v187                                    // 00000000BFC4: 7E3E03BB
	v_cmp_u_f32_e64 s[78:79], v30, v30                         // 00000000BFC8: D048004E 00023D1E
	v_bfe_u32 v248, v30, 16, 1                                 // 00000000BFD0: D1C800F8 0205211E
	v_add3_u32 v248, v30, v248, v251                           // 00000000BFD8: D1FF00F8 07EFF11E
	v_cndmask_b32_e64 v28, v248, v250, s[78:79]                // 00000000BFE0: D100001C 013BF5F8
	v_lshrrev_b32_e32 v28, 16, v28                             // 00000000BFE8: 20383890
	v_cmp_u_f32_e64 s[78:79], v31, v31                         // 00000000BFEC: D048004E 00023F1F
	v_bfe_u32 v248, v31, 16, 1                                 // 00000000BFF4: D1C800F8 0205211F
	v_add3_u32 v248, v31, v248, v251                           // 00000000BFFC: D1FF00F8 07EFF11F
	v_cndmask_b32_e64 v29, v248, v250, s[78:79]                // 00000000C004: D100001D 013BF5F8
	v_and_or_b32 v169, v29, v249, v28                          // 00000000C00C: D20100A9 0473F31D
	v_mov_b32_e32 v30, v188                                    // 00000000C014: 7E3C03BC
	v_mov_b32_e32 v31, v189                                    // 00000000C018: 7E3E03BD
	v_cmp_u_f32_e64 s[78:79], v30, v30                         // 00000000C01C: D048004E 00023D1E
	v_bfe_u32 v248, v30, 16, 1                                 // 00000000C024: D1C800F8 0205211E
	v_add3_u32 v248, v30, v248, v251                           // 00000000C02C: D1FF00F8 07EFF11E
	v_cndmask_b32_e64 v28, v248, v250, s[78:79]                // 00000000C034: D100001C 013BF5F8
	v_lshrrev_b32_e32 v28, 16, v28                             // 00000000C03C: 20383890
	v_cmp_u_f32_e64 s[78:79], v31, v31                         // 00000000C040: D048004E 00023F1F
	v_bfe_u32 v248, v31, 16, 1                                 // 00000000C048: D1C800F8 0205211F
	v_add3_u32 v248, v31, v248, v251                           // 00000000C050: D1FF00F8 07EFF11F
	v_cndmask_b32_e64 v29, v248, v250, s[78:79]                // 00000000C058: D100001D 013BF5F8
	v_and_or_b32 v170, v29, v249, v28                          // 00000000C060: D20100AA 0473F31D
	v_mov_b32_e32 v30, v190                                    // 00000000C068: 7E3C03BE
	v_mov_b32_e32 v31, v191                                    // 00000000C06C: 7E3E03BF
	v_cmp_u_f32_e64 s[78:79], v30, v30                         // 00000000C070: D048004E 00023D1E
	v_bfe_u32 v248, v30, 16, 1                                 // 00000000C078: D1C800F8 0205211E
	v_add3_u32 v248, v30, v248, v251                           // 00000000C080: D1FF00F8 07EFF11E
	v_cndmask_b32_e64 v28, v248, v250, s[78:79]                // 00000000C088: D100001C 013BF5F8
	v_lshrrev_b32_e32 v28, 16, v28                             // 00000000C090: 20383890
	v_cmp_u_f32_e64 s[78:79], v31, v31                         // 00000000C094: D048004E 00023F1F
	v_bfe_u32 v248, v31, 16, 1                                 // 00000000C09C: D1C800F8 0205211F
	v_add3_u32 v248, v31, v248, v251                           // 00000000C0A4: D1FF00F8 07EFF11F
	v_cndmask_b32_e64 v29, v248, v250, s[78:79]                // 00000000C0AC: D100001D 013BF5F8
	v_and_or_b32 v171, v29, v249, v28                          // 00000000C0B4: D20100AB 0473F31D
	v_mov_b32_e32 v30, v192                                    // 00000000C0BC: 7E3C03C0
	v_mov_b32_e32 v31, v193                                    // 00000000C0C0: 7E3E03C1
	v_cmp_u_f32_e64 s[78:79], v30, v30                         // 00000000C0C4: D048004E 00023D1E
	v_bfe_u32 v248, v30, 16, 1                                 // 00000000C0CC: D1C800F8 0205211E
	v_add3_u32 v248, v30, v248, v251                           // 00000000C0D4: D1FF00F8 07EFF11E
	v_cndmask_b32_e64 v28, v248, v250, s[78:79]                // 00000000C0DC: D100001C 013BF5F8
	v_lshrrev_b32_e32 v28, 16, v28                             // 00000000C0E4: 20383890
	v_cmp_u_f32_e64 s[78:79], v31, v31                         // 00000000C0E8: D048004E 00023F1F
	v_bfe_u32 v248, v31, 16, 1                                 // 00000000C0F0: D1C800F8 0205211F
	v_add3_u32 v248, v31, v248, v251                           // 00000000C0F8: D1FF00F8 07EFF11F
	v_cndmask_b32_e64 v29, v248, v250, s[78:79]                // 00000000C100: D100001D 013BF5F8
	v_and_or_b32 v172, v29, v249, v28                          // 00000000C108: D20100AC 0473F31D
	v_mov_b32_e32 v30, v194                                    // 00000000C110: 7E3C03C2
	v_mov_b32_e32 v31, v195                                    // 00000000C114: 7E3E03C3
	v_cmp_u_f32_e64 s[78:79], v30, v30                         // 00000000C118: D048004E 00023D1E
	v_bfe_u32 v248, v30, 16, 1                                 // 00000000C120: D1C800F8 0205211E
	v_add3_u32 v248, v30, v248, v251                           // 00000000C128: D1FF00F8 07EFF11E
	v_cndmask_b32_e64 v28, v248, v250, s[78:79]                // 00000000C130: D100001C 013BF5F8
	v_lshrrev_b32_e32 v28, 16, v28                             // 00000000C138: 20383890
	v_cmp_u_f32_e64 s[78:79], v31, v31                         // 00000000C13C: D048004E 00023F1F
	v_bfe_u32 v248, v31, 16, 1                                 // 00000000C144: D1C800F8 0205211F
	v_add3_u32 v248, v31, v248, v251                           // 00000000C14C: D1FF00F8 07EFF11F
	v_cndmask_b32_e64 v29, v248, v250, s[78:79]                // 00000000C154: D100001D 013BF5F8
	v_and_or_b32 v173, v29, v249, v28                          // 00000000C15C: D20100AD 0473F31D
	v_mov_b32_e32 v30, v196                                    // 00000000C164: 7E3C03C4
	v_mov_b32_e32 v31, v197                                    // 00000000C168: 7E3E03C5
	v_cmp_u_f32_e64 s[78:79], v30, v30                         // 00000000C16C: D048004E 00023D1E
	v_bfe_u32 v248, v30, 16, 1                                 // 00000000C174: D1C800F8 0205211E
	v_add3_u32 v248, v30, v248, v251                           // 00000000C17C: D1FF00F8 07EFF11E
	v_cndmask_b32_e64 v28, v248, v250, s[78:79]                // 00000000C184: D100001C 013BF5F8
	v_lshrrev_b32_e32 v28, 16, v28                             // 00000000C18C: 20383890
	v_cmp_u_f32_e64 s[78:79], v31, v31                         // 00000000C190: D048004E 00023F1F
	v_bfe_u32 v248, v31, 16, 1                                 // 00000000C198: D1C800F8 0205211F
	v_add3_u32 v248, v31, v248, v251                           // 00000000C1A0: D1FF00F8 07EFF11F
	v_cndmask_b32_e64 v29, v248, v250, s[78:79]                // 00000000C1A8: D100001D 013BF5F8
	v_and_or_b32 v174, v29, v249, v28                          // 00000000C1B0: D20100AE 0473F31D
	v_mov_b32_e32 v30, v198                                    // 00000000C1B8: 7E3C03C6
	v_mov_b32_e32 v31, v199                                    // 00000000C1BC: 7E3E03C7
	v_cmp_u_f32_e64 s[78:79], v30, v30                         // 00000000C1C0: D048004E 00023D1E
	v_bfe_u32 v248, v30, 16, 1                                 // 00000000C1C8: D1C800F8 0205211E
	v_add3_u32 v248, v30, v248, v251                           // 00000000C1D0: D1FF00F8 07EFF11E
	v_cndmask_b32_e64 v28, v248, v250, s[78:79]                // 00000000C1D8: D100001C 013BF5F8
	v_lshrrev_b32_e32 v28, 16, v28                             // 00000000C1E0: 20383890
	v_cmp_u_f32_e64 s[78:79], v31, v31                         // 00000000C1E4: D048004E 00023F1F
	v_bfe_u32 v248, v31, 16, 1                                 // 00000000C1EC: D1C800F8 0205211F
	v_add3_u32 v248, v31, v248, v251                           // 00000000C1F4: D1FF00F8 07EFF11F
	v_cndmask_b32_e64 v29, v248, v250, s[78:79]                // 00000000C1FC: D100001D 013BF5F8
	v_and_or_b32 v175, v29, v249, v28                          // 00000000C204: D20100AF 0473F31D
	v_mov_b32_e32 v30, v200                                    // 00000000C20C: 7E3C03C8
	v_mov_b32_e32 v31, v201                                    // 00000000C210: 7E3E03C9
	v_cmp_u_f32_e64 s[78:79], v30, v30                         // 00000000C214: D048004E 00023D1E
	v_bfe_u32 v248, v30, 16, 1                                 // 00000000C21C: D1C800F8 0205211E
	v_add3_u32 v248, v30, v248, v251                           // 00000000C224: D1FF00F8 07EFF11E
	v_cndmask_b32_e64 v28, v248, v250, s[78:79]                // 00000000C22C: D100001C 013BF5F8
	v_lshrrev_b32_e32 v28, 16, v28                             // 00000000C234: 20383890
	v_cmp_u_f32_e64 s[78:79], v31, v31                         // 00000000C238: D048004E 00023F1F
	v_bfe_u32 v248, v31, 16, 1                                 // 00000000C240: D1C800F8 0205211F
	v_add3_u32 v248, v31, v248, v251                           // 00000000C248: D1FF00F8 07EFF11F
	v_cndmask_b32_e64 v29, v248, v250, s[78:79]                // 00000000C250: D100001D 013BF5F8
	v_and_or_b32 v176, v29, v249, v28                          // 00000000C258: D20100B0 0473F31D
	v_mov_b32_e32 v30, v202                                    // 00000000C260: 7E3C03CA
	v_mov_b32_e32 v31, v203                                    // 00000000C264: 7E3E03CB
	v_cmp_u_f32_e64 s[78:79], v30, v30                         // 00000000C268: D048004E 00023D1E
	v_bfe_u32 v248, v30, 16, 1                                 // 00000000C270: D1C800F8 0205211E
	v_add3_u32 v248, v30, v248, v251                           // 00000000C278: D1FF00F8 07EFF11E
	v_cndmask_b32_e64 v28, v248, v250, s[78:79]                // 00000000C280: D100001C 013BF5F8
	v_lshrrev_b32_e32 v28, 16, v28                             // 00000000C288: 20383890
	v_cmp_u_f32_e64 s[78:79], v31, v31                         // 00000000C28C: D048004E 00023F1F
	v_bfe_u32 v248, v31, 16, 1                                 // 00000000C294: D1C800F8 0205211F
	v_add3_u32 v248, v31, v248, v251                           // 00000000C29C: D1FF00F8 07EFF11F
	v_cndmask_b32_e64 v29, v248, v250, s[78:79]                // 00000000C2A4: D100001D 013BF5F8
	v_and_or_b32 v177, v29, v249, v28                          // 00000000C2AC: D20100B1 0473F31D
	v_mov_b32_e32 v30, v204                                    // 00000000C2B4: 7E3C03CC
	v_mov_b32_e32 v31, v205                                    // 00000000C2B8: 7E3E03CD
	v_cmp_u_f32_e64 s[78:79], v30, v30                         // 00000000C2BC: D048004E 00023D1E
	v_bfe_u32 v248, v30, 16, 1                                 // 00000000C2C4: D1C800F8 0205211E
	v_add3_u32 v248, v30, v248, v251                           // 00000000C2CC: D1FF00F8 07EFF11E
	v_cndmask_b32_e64 v28, v248, v250, s[78:79]                // 00000000C2D4: D100001C 013BF5F8
	v_lshrrev_b32_e32 v28, 16, v28                             // 00000000C2DC: 20383890
	v_cmp_u_f32_e64 s[78:79], v31, v31                         // 00000000C2E0: D048004E 00023F1F
	v_bfe_u32 v248, v31, 16, 1                                 // 00000000C2E8: D1C800F8 0205211F
	v_add3_u32 v248, v31, v248, v251                           // 00000000C2F0: D1FF00F8 07EFF11F
	v_cndmask_b32_e64 v29, v248, v250, s[78:79]                // 00000000C2F8: D100001D 013BF5F8
	v_and_or_b32 v178, v29, v249, v28                          // 00000000C300: D20100B2 0473F31D
	v_mov_b32_e32 v30, v206                                    // 00000000C308: 7E3C03CE
	v_mov_b32_e32 v31, v207                                    // 00000000C30C: 7E3E03CF
	v_cmp_u_f32_e64 s[78:79], v30, v30                         // 00000000C310: D048004E 00023D1E
	v_bfe_u32 v248, v30, 16, 1                                 // 00000000C318: D1C800F8 0205211E
	v_add3_u32 v248, v30, v248, v251                           // 00000000C320: D1FF00F8 07EFF11E
	v_cndmask_b32_e64 v28, v248, v250, s[78:79]                // 00000000C328: D100001C 013BF5F8
	v_lshrrev_b32_e32 v28, 16, v28                             // 00000000C330: 20383890
	v_cmp_u_f32_e64 s[78:79], v31, v31                         // 00000000C334: D048004E 00023F1F
	v_bfe_u32 v248, v31, 16, 1                                 // 00000000C33C: D1C800F8 0205211F
	v_add3_u32 v248, v31, v248, v251                           // 00000000C344: D1FF00F8 07EFF11F
	v_cndmask_b32_e64 v29, v248, v250, s[78:79]                // 00000000C34C: D100001D 013BF5F8
	v_and_or_b32 v179, v29, v249, v28                          // 00000000C354: D20100B3 0473F31D
	v_mov_b32_e32 v30, v208                                    // 00000000C35C: 7E3C03D0
	v_mov_b32_e32 v31, v209                                    // 00000000C360: 7E3E03D1
	v_cmp_u_f32_e64 s[78:79], v30, v30                         // 00000000C364: D048004E 00023D1E
	v_bfe_u32 v248, v30, 16, 1                                 // 00000000C36C: D1C800F8 0205211E
	v_add3_u32 v248, v30, v248, v251                           // 00000000C374: D1FF00F8 07EFF11E
	v_cndmask_b32_e64 v28, v248, v250, s[78:79]                // 00000000C37C: D100001C 013BF5F8
	v_lshrrev_b32_e32 v28, 16, v28                             // 00000000C384: 20383890
	v_cmp_u_f32_e64 s[78:79], v31, v31                         // 00000000C388: D048004E 00023F1F
	v_bfe_u32 v248, v31, 16, 1                                 // 00000000C390: D1C800F8 0205211F
	v_add3_u32 v248, v31, v248, v251                           // 00000000C398: D1FF00F8 07EFF11F
	v_cndmask_b32_e64 v29, v248, v250, s[78:79]                // 00000000C3A0: D100001D 013BF5F8
	v_and_or_b32 v180, v29, v249, v28                          // 00000000C3A8: D20100B4 0473F31D
	v_mov_b32_e32 v30, v210                                    // 00000000C3B0: 7E3C03D2
	v_mov_b32_e32 v31, v211                                    // 00000000C3B4: 7E3E03D3
	v_cmp_u_f32_e64 s[78:79], v30, v30                         // 00000000C3B8: D048004E 00023D1E
	v_bfe_u32 v248, v30, 16, 1                                 // 00000000C3C0: D1C800F8 0205211E
	v_add3_u32 v248, v30, v248, v251                           // 00000000C3C8: D1FF00F8 07EFF11E
	v_cndmask_b32_e64 v28, v248, v250, s[78:79]                // 00000000C3D0: D100001C 013BF5F8
	v_lshrrev_b32_e32 v28, 16, v28                             // 00000000C3D8: 20383890
	v_cmp_u_f32_e64 s[78:79], v31, v31                         // 00000000C3DC: D048004E 00023F1F
	v_bfe_u32 v248, v31, 16, 1                                 // 00000000C3E4: D1C800F8 0205211F
	v_add3_u32 v248, v31, v248, v251                           // 00000000C3EC: D1FF00F8 07EFF11F
	v_cndmask_b32_e64 v29, v248, v250, s[78:79]                // 00000000C3F4: D100001D 013BF5F8
	v_and_or_b32 v181, v29, v249, v28                          // 00000000C3FC: D20100B5 0473F31D
	v_mov_b32_e32 v30, v212                                    // 00000000C404: 7E3C03D4
	v_mov_b32_e32 v31, v213                                    // 00000000C408: 7E3E03D5
	v_cmp_u_f32_e64 s[78:79], v30, v30                         // 00000000C40C: D048004E 00023D1E
	v_bfe_u32 v248, v30, 16, 1                                 // 00000000C414: D1C800F8 0205211E
	v_add3_u32 v248, v30, v248, v251                           // 00000000C41C: D1FF00F8 07EFF11E
	v_cndmask_b32_e64 v28, v248, v250, s[78:79]                // 00000000C424: D100001C 013BF5F8
	v_lshrrev_b32_e32 v28, 16, v28                             // 00000000C42C: 20383890
	v_cmp_u_f32_e64 s[78:79], v31, v31                         // 00000000C430: D048004E 00023F1F
	v_bfe_u32 v248, v31, 16, 1                                 // 00000000C438: D1C800F8 0205211F
	v_add3_u32 v248, v31, v248, v251                           // 00000000C440: D1FF00F8 07EFF11F
	v_cndmask_b32_e64 v29, v248, v250, s[78:79]                // 00000000C448: D100001D 013BF5F8
	v_and_or_b32 v182, v29, v249, v28                          // 00000000C450: D20100B6 0473F31D
	v_mov_b32_e32 v30, v214                                    // 00000000C458: 7E3C03D6
	v_mov_b32_e32 v31, v215                                    // 00000000C45C: 7E3E03D7
	v_cmp_u_f32_e64 s[78:79], v30, v30                         // 00000000C460: D048004E 00023D1E
	v_bfe_u32 v248, v30, 16, 1                                 // 00000000C468: D1C800F8 0205211E
	v_add3_u32 v248, v30, v248, v251                           // 00000000C470: D1FF00F8 07EFF11E
	v_cndmask_b32_e64 v28, v248, v250, s[78:79]                // 00000000C478: D100001C 013BF5F8
	v_lshrrev_b32_e32 v28, 16, v28                             // 00000000C480: 20383890
	v_cmp_u_f32_e64 s[78:79], v31, v31                         // 00000000C484: D048004E 00023F1F
	v_bfe_u32 v248, v31, 16, 1                                 // 00000000C48C: D1C800F8 0205211F
	v_add3_u32 v248, v31, v248, v251                           // 00000000C494: D1FF00F8 07EFF11F
	v_cndmask_b32_e64 v29, v248, v250, s[78:79]                // 00000000C49C: D100001D 013BF5F8
	v_and_or_b32 v183, v29, v249, v28                          // 00000000C4A4: D20100B7 0473F31D
	ds_write_b64 v27, v[168:169] offset:16896                  // 00000000C4AC: D89A4200 0000A81B
	ds_write_b64 v27, v[170:171] offset:17424                  // 00000000C4B4: D89A4410 0000AA1B
	ds_write_b64 v27, v[172:173] offset:17952                  // 00000000C4BC: D89A4620 0000AC1B
	ds_write_b64 v27, v[174:175] offset:18480                  // 00000000C4C4: D89A4830 0000AE1B
	ds_write_b64 v27, v[176:177] offset:19008                  // 00000000C4CC: D89A4A40 0000B01B
	ds_write_b64 v27, v[178:179] offset:19536                  // 00000000C4D4: D89A4C50 0000B21B
	ds_write_b64 v27, v[180:181] offset:20064                  // 00000000C4DC: D89A4E60 0000B41B
	ds_write_b64 v27, v[182:183] offset:20592                  // 00000000C4E4: D89A5070 0000B61B
	s_waitcnt lgkmcnt(0)                                       // 00000000C4EC: BF8CC07F
	s_barrier                                                  // 00000000C4F0: BF8A0000
	ds_read_b64 v[168:169], v26 offset:16896                   // 00000000C4F4: D8EC4200 A800001A
	ds_read_b64 v[170:171], v26 offset:17024                   // 00000000C4FC: D8EC4280 AA00001A
	ds_read_b64 v[172:173], v26 offset:16928                   // 00000000C504: D8EC4220 AC00001A
	ds_read_b64 v[174:175], v26 offset:17056                   // 00000000C50C: D8EC42A0 AE00001A
	ds_read_b64 v[176:177], v26 offset:16960                   // 00000000C514: D8EC4240 B000001A
	ds_read_b64 v[178:179], v26 offset:17088                   // 00000000C51C: D8EC42C0 B200001A
	ds_read_b64 v[180:181], v26 offset:16992                   // 00000000C524: D8EC4260 B400001A
	ds_read_b64 v[182:183], v26 offset:17120                   // 00000000C52C: D8EC42E0 B600001A
	s_waitcnt lgkmcnt(0)                                       // 00000000C534: BF8CC07F
	s_mov_b64 exec, s[96:97]                                   // 00000000C538: BEFE0160
	buffer_store_dwordx4 v[168:171], v10, s[40:43], 0 idxen    // 00000000C53C: E07C2000 800AA80A
	s_mov_b64 exec, s[92:93]                                   // 00000000C544: BEFE015C
	v_add_u32_e32 v10, s46, v10                                // 00000000C548: 6814142E
	s_mov_b64 exec, s[96:97]                                   // 00000000C54C: BEFE0160
	buffer_store_dwordx4 v[172:175], v10, s[40:43], 0 idxen    // 00000000C550: E07C2000 800AAC0A
	s_mov_b64 exec, s[92:93]                                   // 00000000C558: BEFE015C
	v_add_u32_e32 v10, s46, v10                                // 00000000C55C: 6814142E
	s_mov_b64 exec, s[96:97]                                   // 00000000C560: BEFE0160
	buffer_store_dwordx4 v[176:179], v10, s[40:43], 0 idxen    // 00000000C564: E07C2000 800AB00A
	s_mov_b64 exec, s[92:93]                                   // 00000000C56C: BEFE015C
	v_add_u32_e32 v10, s46, v10                                // 00000000C570: 6814142E
	s_mov_b64 exec, s[96:97]                                   // 00000000C574: BEFE0160
	buffer_store_dwordx4 v[180:183], v10, s[40:43], 0 idxen    // 00000000C578: E07C2000 800AB40A
	s_mov_b64 exec, s[92:93]                                   // 00000000C580: BEFE015C
	v_add_u32_e32 v10, s46, v10                                // 00000000C584: 6814142E
	s_mul_i32 s60, 12, s46                                     // 00000000C588: 923C2E8C
	v_add_u32_e32 v10, s60, v10                                // 00000000C58C: 6814143C
	s_cmp_ge_i32 2, s72                                        // 00000000C590: BF034882
	s_cbranch_scc1 label_2371                                  // 00000000C594: BF85018B
	v_mov_b32_e32 v30, v216                                    // 00000000C598: 7E3C03D8
	v_mov_b32_e32 v31, v217                                    // 00000000C59C: 7E3E03D9
	v_cmp_u_f32_e64 s[78:79], v30, v30                         // 00000000C5A0: D048004E 00023D1E
	v_bfe_u32 v248, v30, 16, 1                                 // 00000000C5A8: D1C800F8 0205211E
	v_add3_u32 v248, v30, v248, v251                           // 00000000C5B0: D1FF00F8 07EFF11E
	v_cndmask_b32_e64 v28, v248, v250, s[78:79]                // 00000000C5B8: D100001C 013BF5F8
	v_lshrrev_b32_e32 v28, 16, v28                             // 00000000C5C0: 20383890
	v_cmp_u_f32_e64 s[78:79], v31, v31                         // 00000000C5C4: D048004E 00023F1F
	v_bfe_u32 v248, v31, 16, 1                                 // 00000000C5CC: D1C800F8 0205211F
	v_add3_u32 v248, v31, v248, v251                           // 00000000C5D4: D1FF00F8 07EFF11F
	v_cndmask_b32_e64 v29, v248, v250, s[78:79]                // 00000000C5DC: D100001D 013BF5F8
	v_and_or_b32 v184, v29, v249, v28                          // 00000000C5E4: D20100B8 0473F31D
	v_mov_b32_e32 v30, v218                                    // 00000000C5EC: 7E3C03DA
	v_mov_b32_e32 v31, v219                                    // 00000000C5F0: 7E3E03DB
	v_cmp_u_f32_e64 s[78:79], v30, v30                         // 00000000C5F4: D048004E 00023D1E
	v_bfe_u32 v248, v30, 16, 1                                 // 00000000C5FC: D1C800F8 0205211E
	v_add3_u32 v248, v30, v248, v251                           // 00000000C604: D1FF00F8 07EFF11E
	v_cndmask_b32_e64 v28, v248, v250, s[78:79]                // 00000000C60C: D100001C 013BF5F8
	v_lshrrev_b32_e32 v28, 16, v28                             // 00000000C614: 20383890
	v_cmp_u_f32_e64 s[78:79], v31, v31                         // 00000000C618: D048004E 00023F1F
	v_bfe_u32 v248, v31, 16, 1                                 // 00000000C620: D1C800F8 0205211F
	v_add3_u32 v248, v31, v248, v251                           // 00000000C628: D1FF00F8 07EFF11F
	v_cndmask_b32_e64 v29, v248, v250, s[78:79]                // 00000000C630: D100001D 013BF5F8
	v_and_or_b32 v185, v29, v249, v28                          // 00000000C638: D20100B9 0473F31D
	v_mov_b32_e32 v30, v220                                    // 00000000C640: 7E3C03DC
	v_mov_b32_e32 v31, v221                                    // 00000000C644: 7E3E03DD
	v_cmp_u_f32_e64 s[78:79], v30, v30                         // 00000000C648: D048004E 00023D1E
	v_bfe_u32 v248, v30, 16, 1                                 // 00000000C650: D1C800F8 0205211E
	v_add3_u32 v248, v30, v248, v251                           // 00000000C658: D1FF00F8 07EFF11E
	v_cndmask_b32_e64 v28, v248, v250, s[78:79]                // 00000000C660: D100001C 013BF5F8
	v_lshrrev_b32_e32 v28, 16, v28                             // 00000000C668: 20383890
	v_cmp_u_f32_e64 s[78:79], v31, v31                         // 00000000C66C: D048004E 00023F1F
	v_bfe_u32 v248, v31, 16, 1                                 // 00000000C674: D1C800F8 0205211F
	v_add3_u32 v248, v31, v248, v251                           // 00000000C67C: D1FF00F8 07EFF11F
	v_cndmask_b32_e64 v29, v248, v250, s[78:79]                // 00000000C684: D100001D 013BF5F8
	v_and_or_b32 v186, v29, v249, v28                          // 00000000C68C: D20100BA 0473F31D
	v_mov_b32_e32 v30, v222                                    // 00000000C694: 7E3C03DE
	v_mov_b32_e32 v31, v223                                    // 00000000C698: 7E3E03DF
	v_cmp_u_f32_e64 s[78:79], v30, v30                         // 00000000C69C: D048004E 00023D1E
	v_bfe_u32 v248, v30, 16, 1                                 // 00000000C6A4: D1C800F8 0205211E
	v_add3_u32 v248, v30, v248, v251                           // 00000000C6AC: D1FF00F8 07EFF11E
	v_cndmask_b32_e64 v28, v248, v250, s[78:79]                // 00000000C6B4: D100001C 013BF5F8
	v_lshrrev_b32_e32 v28, 16, v28                             // 00000000C6BC: 20383890
	v_cmp_u_f32_e64 s[78:79], v31, v31                         // 00000000C6C0: D048004E 00023F1F
	v_bfe_u32 v248, v31, 16, 1                                 // 00000000C6C8: D1C800F8 0205211F
	v_add3_u32 v248, v31, v248, v251                           // 00000000C6D0: D1FF00F8 07EFF11F
	v_cndmask_b32_e64 v29, v248, v250, s[78:79]                // 00000000C6D8: D100001D 013BF5F8
	v_and_or_b32 v187, v29, v249, v28                          // 00000000C6E0: D20100BB 0473F31D
	v_mov_b32_e32 v30, v224                                    // 00000000C6E8: 7E3C03E0
	v_mov_b32_e32 v31, v225                                    // 00000000C6EC: 7E3E03E1
	v_cmp_u_f32_e64 s[78:79], v30, v30                         // 00000000C6F0: D048004E 00023D1E
	v_bfe_u32 v248, v30, 16, 1                                 // 00000000C6F8: D1C800F8 0205211E
	v_add3_u32 v248, v30, v248, v251                           // 00000000C700: D1FF00F8 07EFF11E
	v_cndmask_b32_e64 v28, v248, v250, s[78:79]                // 00000000C708: D100001C 013BF5F8
	v_lshrrev_b32_e32 v28, 16, v28                             // 00000000C710: 20383890
	v_cmp_u_f32_e64 s[78:79], v31, v31                         // 00000000C714: D048004E 00023F1F
	v_bfe_u32 v248, v31, 16, 1                                 // 00000000C71C: D1C800F8 0205211F
	v_add3_u32 v248, v31, v248, v251                           // 00000000C724: D1FF00F8 07EFF11F
	v_cndmask_b32_e64 v29, v248, v250, s[78:79]                // 00000000C72C: D100001D 013BF5F8
	v_and_or_b32 v188, v29, v249, v28                          // 00000000C734: D20100BC 0473F31D
	v_mov_b32_e32 v30, v226                                    // 00000000C73C: 7E3C03E2
	v_mov_b32_e32 v31, v227                                    // 00000000C740: 7E3E03E3
	v_cmp_u_f32_e64 s[78:79], v30, v30                         // 00000000C744: D048004E 00023D1E
	v_bfe_u32 v248, v30, 16, 1                                 // 00000000C74C: D1C800F8 0205211E
	v_add3_u32 v248, v30, v248, v251                           // 00000000C754: D1FF00F8 07EFF11E
	v_cndmask_b32_e64 v28, v248, v250, s[78:79]                // 00000000C75C: D100001C 013BF5F8
	v_lshrrev_b32_e32 v28, 16, v28                             // 00000000C764: 20383890
	v_cmp_u_f32_e64 s[78:79], v31, v31                         // 00000000C768: D048004E 00023F1F
	v_bfe_u32 v248, v31, 16, 1                                 // 00000000C770: D1C800F8 0205211F
	v_add3_u32 v248, v31, v248, v251                           // 00000000C778: D1FF00F8 07EFF11F
	v_cndmask_b32_e64 v29, v248, v250, s[78:79]                // 00000000C780: D100001D 013BF5F8
	v_and_or_b32 v189, v29, v249, v28                          // 00000000C788: D20100BD 0473F31D
	v_mov_b32_e32 v30, v228                                    // 00000000C790: 7E3C03E4
	v_mov_b32_e32 v31, v229                                    // 00000000C794: 7E3E03E5
	v_cmp_u_f32_e64 s[78:79], v30, v30                         // 00000000C798: D048004E 00023D1E
	v_bfe_u32 v248, v30, 16, 1                                 // 00000000C7A0: D1C800F8 0205211E
	v_add3_u32 v248, v30, v248, v251                           // 00000000C7A8: D1FF00F8 07EFF11E
	v_cndmask_b32_e64 v28, v248, v250, s[78:79]                // 00000000C7B0: D100001C 013BF5F8
	v_lshrrev_b32_e32 v28, 16, v28                             // 00000000C7B8: 20383890
	v_cmp_u_f32_e64 s[78:79], v31, v31                         // 00000000C7BC: D048004E 00023F1F
	v_bfe_u32 v248, v31, 16, 1                                 // 00000000C7C4: D1C800F8 0205211F
	v_add3_u32 v248, v31, v248, v251                           // 00000000C7CC: D1FF00F8 07EFF11F
	v_cndmask_b32_e64 v29, v248, v250, s[78:79]                // 00000000C7D4: D100001D 013BF5F8
	v_and_or_b32 v190, v29, v249, v28                          // 00000000C7DC: D20100BE 0473F31D
	v_mov_b32_e32 v30, v230                                    // 00000000C7E4: 7E3C03E6
	v_mov_b32_e32 v31, v231                                    // 00000000C7E8: 7E3E03E7
	v_cmp_u_f32_e64 s[78:79], v30, v30                         // 00000000C7EC: D048004E 00023D1E
	v_bfe_u32 v248, v30, 16, 1                                 // 00000000C7F4: D1C800F8 0205211E
	v_add3_u32 v248, v30, v248, v251                           // 00000000C7FC: D1FF00F8 07EFF11E
	v_cndmask_b32_e64 v28, v248, v250, s[78:79]                // 00000000C804: D100001C 013BF5F8
	v_lshrrev_b32_e32 v28, 16, v28                             // 00000000C80C: 20383890
	v_cmp_u_f32_e64 s[78:79], v31, v31                         // 00000000C810: D048004E 00023F1F
	v_bfe_u32 v248, v31, 16, 1                                 // 00000000C818: D1C800F8 0205211F
	v_add3_u32 v248, v31, v248, v251                           // 00000000C820: D1FF00F8 07EFF11F
	v_cndmask_b32_e64 v29, v248, v250, s[78:79]                // 00000000C828: D100001D 013BF5F8
	v_and_or_b32 v191, v29, v249, v28                          // 00000000C830: D20100BF 0473F31D
	v_mov_b32_e32 v30, v232                                    // 00000000C838: 7E3C03E8
	v_mov_b32_e32 v31, v233                                    // 00000000C83C: 7E3E03E9
	v_cmp_u_f32_e64 s[78:79], v30, v30                         // 00000000C840: D048004E 00023D1E
	v_bfe_u32 v248, v30, 16, 1                                 // 00000000C848: D1C800F8 0205211E
	v_add3_u32 v248, v30, v248, v251                           // 00000000C850: D1FF00F8 07EFF11E
	v_cndmask_b32_e64 v28, v248, v250, s[78:79]                // 00000000C858: D100001C 013BF5F8
	v_lshrrev_b32_e32 v28, 16, v28                             // 00000000C860: 20383890
	v_cmp_u_f32_e64 s[78:79], v31, v31                         // 00000000C864: D048004E 00023F1F
	v_bfe_u32 v248, v31, 16, 1                                 // 00000000C86C: D1C800F8 0205211F
	v_add3_u32 v248, v31, v248, v251                           // 00000000C874: D1FF00F8 07EFF11F
	v_cndmask_b32_e64 v29, v248, v250, s[78:79]                // 00000000C87C: D100001D 013BF5F8
	v_and_or_b32 v192, v29, v249, v28                          // 00000000C884: D20100C0 0473F31D
	v_mov_b32_e32 v30, v234                                    // 00000000C88C: 7E3C03EA
	v_mov_b32_e32 v31, v235                                    // 00000000C890: 7E3E03EB
	v_cmp_u_f32_e64 s[78:79], v30, v30                         // 00000000C894: D048004E 00023D1E
	v_bfe_u32 v248, v30, 16, 1                                 // 00000000C89C: D1C800F8 0205211E
	v_add3_u32 v248, v30, v248, v251                           // 00000000C8A4: D1FF00F8 07EFF11E
	v_cndmask_b32_e64 v28, v248, v250, s[78:79]                // 00000000C8AC: D100001C 013BF5F8
	v_lshrrev_b32_e32 v28, 16, v28                             // 00000000C8B4: 20383890
	v_cmp_u_f32_e64 s[78:79], v31, v31                         // 00000000C8B8: D048004E 00023F1F
	v_bfe_u32 v248, v31, 16, 1                                 // 00000000C8C0: D1C800F8 0205211F
	v_add3_u32 v248, v31, v248, v251                           // 00000000C8C8: D1FF00F8 07EFF11F
	v_cndmask_b32_e64 v29, v248, v250, s[78:79]                // 00000000C8D0: D100001D 013BF5F8
	v_and_or_b32 v193, v29, v249, v28                          // 00000000C8D8: D20100C1 0473F31D
	v_mov_b32_e32 v30, v236                                    // 00000000C8E0: 7E3C03EC
	v_mov_b32_e32 v31, v237                                    // 00000000C8E4: 7E3E03ED
	v_cmp_u_f32_e64 s[78:79], v30, v30                         // 00000000C8E8: D048004E 00023D1E
	v_bfe_u32 v248, v30, 16, 1                                 // 00000000C8F0: D1C800F8 0205211E
	v_add3_u32 v248, v30, v248, v251                           // 00000000C8F8: D1FF00F8 07EFF11E
	v_cndmask_b32_e64 v28, v248, v250, s[78:79]                // 00000000C900: D100001C 013BF5F8
	v_lshrrev_b32_e32 v28, 16, v28                             // 00000000C908: 20383890
	v_cmp_u_f32_e64 s[78:79], v31, v31                         // 00000000C90C: D048004E 00023F1F
	v_bfe_u32 v248, v31, 16, 1                                 // 00000000C914: D1C800F8 0205211F
	v_add3_u32 v248, v31, v248, v251                           // 00000000C91C: D1FF00F8 07EFF11F
	v_cndmask_b32_e64 v29, v248, v250, s[78:79]                // 00000000C924: D100001D 013BF5F8
	v_and_or_b32 v194, v29, v249, v28                          // 00000000C92C: D20100C2 0473F31D
	v_mov_b32_e32 v30, v238                                    // 00000000C934: 7E3C03EE
	v_mov_b32_e32 v31, v239                                    // 00000000C938: 7E3E03EF
	v_cmp_u_f32_e64 s[78:79], v30, v30                         // 00000000C93C: D048004E 00023D1E
	v_bfe_u32 v248, v30, 16, 1                                 // 00000000C944: D1C800F8 0205211E
	v_add3_u32 v248, v30, v248, v251                           // 00000000C94C: D1FF00F8 07EFF11E
	v_cndmask_b32_e64 v28, v248, v250, s[78:79]                // 00000000C954: D100001C 013BF5F8
	v_lshrrev_b32_e32 v28, 16, v28                             // 00000000C95C: 20383890
	v_cmp_u_f32_e64 s[78:79], v31, v31                         // 00000000C960: D048004E 00023F1F
	v_bfe_u32 v248, v31, 16, 1                                 // 00000000C968: D1C800F8 0205211F
	v_add3_u32 v248, v31, v248, v251                           // 00000000C970: D1FF00F8 07EFF11F
	v_cndmask_b32_e64 v29, v248, v250, s[78:79]                // 00000000C978: D100001D 013BF5F8
	v_and_or_b32 v195, v29, v249, v28                          // 00000000C980: D20100C3 0473F31D
	v_mov_b32_e32 v30, v240                                    // 00000000C988: 7E3C03F0
	v_mov_b32_e32 v31, v241                                    // 00000000C98C: 7E3E03F1
	v_cmp_u_f32_e64 s[78:79], v30, v30                         // 00000000C990: D048004E 00023D1E
	v_bfe_u32 v248, v30, 16, 1                                 // 00000000C998: D1C800F8 0205211E
	v_add3_u32 v248, v30, v248, v251                           // 00000000C9A0: D1FF00F8 07EFF11E
	v_cndmask_b32_e64 v28, v248, v250, s[78:79]                // 00000000C9A8: D100001C 013BF5F8
	v_lshrrev_b32_e32 v28, 16, v28                             // 00000000C9B0: 20383890
	v_cmp_u_f32_e64 s[78:79], v31, v31                         // 00000000C9B4: D048004E 00023F1F
	v_bfe_u32 v248, v31, 16, 1                                 // 00000000C9BC: D1C800F8 0205211F
	v_add3_u32 v248, v31, v248, v251                           // 00000000C9C4: D1FF00F8 07EFF11F
	v_cndmask_b32_e64 v29, v248, v250, s[78:79]                // 00000000C9CC: D100001D 013BF5F8
	v_and_or_b32 v196, v29, v249, v28                          // 00000000C9D4: D20100C4 0473F31D
	v_mov_b32_e32 v30, v242                                    // 00000000C9DC: 7E3C03F2
	v_mov_b32_e32 v31, v243                                    // 00000000C9E0: 7E3E03F3
	v_cmp_u_f32_e64 s[78:79], v30, v30                         // 00000000C9E4: D048004E 00023D1E
	v_bfe_u32 v248, v30, 16, 1                                 // 00000000C9EC: D1C800F8 0205211E
	v_add3_u32 v248, v30, v248, v251                           // 00000000C9F4: D1FF00F8 07EFF11E
	v_cndmask_b32_e64 v28, v248, v250, s[78:79]                // 00000000C9FC: D100001C 013BF5F8
	v_lshrrev_b32_e32 v28, 16, v28                             // 00000000CA04: 20383890
	v_cmp_u_f32_e64 s[78:79], v31, v31                         // 00000000CA08: D048004E 00023F1F
	v_bfe_u32 v248, v31, 16, 1                                 // 00000000CA10: D1C800F8 0205211F
	v_add3_u32 v248, v31, v248, v251                           // 00000000CA18: D1FF00F8 07EFF11F
	v_cndmask_b32_e64 v29, v248, v250, s[78:79]                // 00000000CA20: D100001D 013BF5F8
	v_and_or_b32 v197, v29, v249, v28                          // 00000000CA28: D20100C5 0473F31D
	v_mov_b32_e32 v30, v244                                    // 00000000CA30: 7E3C03F4
	v_mov_b32_e32 v31, v245                                    // 00000000CA34: 7E3E03F5
	v_cmp_u_f32_e64 s[78:79], v30, v30                         // 00000000CA38: D048004E 00023D1E
	v_bfe_u32 v248, v30, 16, 1                                 // 00000000CA40: D1C800F8 0205211E
	v_add3_u32 v248, v30, v248, v251                           // 00000000CA48: D1FF00F8 07EFF11E
	v_cndmask_b32_e64 v28, v248, v250, s[78:79]                // 00000000CA50: D100001C 013BF5F8
	v_lshrrev_b32_e32 v28, 16, v28                             // 00000000CA58: 20383890
	v_cmp_u_f32_e64 s[78:79], v31, v31                         // 00000000CA5C: D048004E 00023F1F
	v_bfe_u32 v248, v31, 16, 1                                 // 00000000CA64: D1C800F8 0205211F
	v_add3_u32 v248, v31, v248, v251                           // 00000000CA6C: D1FF00F8 07EFF11F
	v_cndmask_b32_e64 v29, v248, v250, s[78:79]                // 00000000CA74: D100001D 013BF5F8
	v_and_or_b32 v198, v29, v249, v28                          // 00000000CA7C: D20100C6 0473F31D
	v_mov_b32_e32 v30, v246                                    // 00000000CA84: 7E3C03F6
	v_mov_b32_e32 v31, v247                                    // 00000000CA88: 7E3E03F7
	v_cmp_u_f32_e64 s[78:79], v30, v30                         // 00000000CA8C: D048004E 00023D1E
	v_bfe_u32 v248, v30, 16, 1                                 // 00000000CA94: D1C800F8 0205211E
	v_add3_u32 v248, v30, v248, v251                           // 00000000CA9C: D1FF00F8 07EFF11E
	v_cndmask_b32_e64 v28, v248, v250, s[78:79]                // 00000000CAA4: D100001C 013BF5F8
	v_lshrrev_b32_e32 v28, 16, v28                             // 00000000CAAC: 20383890
	v_cmp_u_f32_e64 s[78:79], v31, v31                         // 00000000CAB0: D048004E 00023F1F
	v_bfe_u32 v248, v31, 16, 1                                 // 00000000CAB8: D1C800F8 0205211F
	v_add3_u32 v248, v31, v248, v251                           // 00000000CAC0: D1FF00F8 07EFF11F
	v_cndmask_b32_e64 v29, v248, v250, s[78:79]                // 00000000CAC8: D100001D 013BF5F8
	v_and_or_b32 v199, v29, v249, v28                          // 00000000CAD0: D20100C7 0473F31D
	ds_write_b64 v27, v[184:185] offset:33792                  // 00000000CAD8: D89A8400 0000B81B
	ds_write_b64 v27, v[186:187] offset:34320                  // 00000000CAE0: D89A8610 0000BA1B
	ds_write_b64 v27, v[188:189] offset:34848                  // 00000000CAE8: D89A8820 0000BC1B
	ds_write_b64 v27, v[190:191] offset:35376                  // 00000000CAF0: D89A8A30 0000BE1B
	ds_write_b64 v27, v[192:193] offset:35904                  // 00000000CAF8: D89A8C40 0000C01B
	ds_write_b64 v27, v[194:195] offset:36432                  // 00000000CB00: D89A8E50 0000C21B
	ds_write_b64 v27, v[196:197] offset:36960                  // 00000000CB08: D89A9060 0000C41B
	ds_write_b64 v27, v[198:199] offset:37488                  // 00000000CB10: D89A9270 0000C61B
	s_waitcnt lgkmcnt(0)                                       // 00000000CB18: BF8CC07F
	s_barrier                                                  // 00000000CB1C: BF8A0000
	ds_read_b64 v[184:185], v26 offset:33792                   // 00000000CB20: D8EC8400 B800001A
	ds_read_b64 v[186:187], v26 offset:33920                   // 00000000CB28: D8EC8480 BA00001A
	ds_read_b64 v[188:189], v26 offset:33824                   // 00000000CB30: D8EC8420 BC00001A
	ds_read_b64 v[190:191], v26 offset:33952                   // 00000000CB38: D8EC84A0 BE00001A
	ds_read_b64 v[192:193], v26 offset:33856                   // 00000000CB40: D8EC8440 C000001A
	ds_read_b64 v[194:195], v26 offset:33984                   // 00000000CB48: D8EC84C0 C200001A
	ds_read_b64 v[196:197], v26 offset:33888                   // 00000000CB50: D8EC8460 C400001A
	ds_read_b64 v[198:199], v26 offset:34016                   // 00000000CB58: D8EC84E0 C600001A
	s_waitcnt lgkmcnt(0)                                       // 00000000CB60: BF8CC07F
	s_mov_b64 exec, s[96:97]                                   // 00000000CB64: BEFE0160
	buffer_store_dwordx4 v[184:187], v10, s[40:43], 0 idxen    // 00000000CB68: E07C2000 800AB80A
	s_mov_b64 exec, s[92:93]                                   // 00000000CB70: BEFE015C
	v_add_u32_e32 v10, s46, v10                                // 00000000CB74: 6814142E
	s_mov_b64 exec, s[96:97]                                   // 00000000CB78: BEFE0160
	buffer_store_dwordx4 v[188:191], v10, s[40:43], 0 idxen    // 00000000CB7C: E07C2000 800ABC0A
	s_mov_b64 exec, s[92:93]                                   // 00000000CB84: BEFE015C
	v_add_u32_e32 v10, s46, v10                                // 00000000CB88: 6814142E
	s_mov_b64 exec, s[96:97]                                   // 00000000CB8C: BEFE0160
	buffer_store_dwordx4 v[192:195], v10, s[40:43], 0 idxen    // 00000000CB90: E07C2000 800AC00A
	s_mov_b64 exec, s[92:93]                                   // 00000000CB98: BEFE015C
	v_add_u32_e32 v10, s46, v10                                // 00000000CB9C: 6814142E
	s_mov_b64 exec, s[96:97]                                   // 00000000CBA0: BEFE0160
	buffer_store_dwordx4 v[196:199], v10, s[40:43], 0 idxen    // 00000000CBA4: E07C2000 800AC40A
	s_mov_b64 exec, s[92:93]                                   // 00000000CBAC: BEFE015C
	v_add_u32_e32 v10, s46, v10                                // 00000000CBB0: 6814142E
	s_mul_i32 s60, 12, s46                                     // 00000000CBB4: 923C2E8C
	v_add_u32_e32 v10, s60, v10                                // 00000000CBB8: 6814143C
	s_cmp_ge_i32 3, s72                                        // 00000000CBBC: BF034883
	s_cbranch_scc1 label_2371                                  // 00000000CBC0: BF850000

000000000000cbc4 <label_2371>:
	s_waitcnt vmcnt(0) expcnt(0) lgkmcnt(0)                    // 00000000CBC4: BF8C0000
	s_mov_b32 s32, s90                                         // 00000000CBC8: BEA0005A
	s_mov_b32 s33, s91                                         // 00000000CBCC: BEA1005B
	s_sub_i32 s60, s77, 1                                      // 00000000CBD0: 81BC814D
	s_sub_i32 s2, s60, s2                                      // 00000000CBD4: 8182023C
	s_addk_i32 s75, 0x1                                        // 00000000CBD8: B74B0001
	s_cmp_lt_i32 s75, s76                                      // 00000000CBDC: BF044C4B
	s_cbranch_scc1 label_0114                                  // 00000000CBE0: BF85DD9B
	s_endpgm                                                   // 00000000CBE4: BF810000
